;; amdgpu-corpus repo=ROCm/rocFFT kind=compiled arch=gfx906 opt=O3
	.text
	.amdgcn_target "amdgcn-amd-amdhsa--gfx906"
	.amdhsa_code_object_version 6
	.protected	bluestein_single_back_len935_dim1_half_op_CI_CI ; -- Begin function bluestein_single_back_len935_dim1_half_op_CI_CI
	.globl	bluestein_single_back_len935_dim1_half_op_CI_CI
	.p2align	8
	.type	bluestein_single_back_len935_dim1_half_op_CI_CI,@function
bluestein_single_back_len935_dim1_half_op_CI_CI: ; @bluestein_single_back_len935_dim1_half_op_CI_CI
; %bb.0:
	s_mov_b64 s[42:43], s[2:3]
	v_mul_u32_u24_e32 v1, 0x304, v0
	s_mov_b64 s[40:41], s[0:1]
	s_load_dwordx4 s[0:3], s[4:5], 0x28
	v_lshrrev_b32_e32 v1, 16, v1
	s_add_u32 s40, s40, s7
	v_mad_u64_u32 v[20:21], s[6:7], s6, 3, v[1:2]
	v_mov_b32_e32 v21, 0
	s_addc_u32 s41, s41, 0
	s_waitcnt lgkmcnt(0)
	v_cmp_gt_u64_e32 vcc, s[0:1], v[20:21]
	s_and_saveexec_b64 s[0:1], vcc
	s_cbranch_execz .LBB0_23
; %bb.1:
	s_mov_b32 s0, 0xaaaaaaab
	v_mul_hi_u32 v2, v20, s0
	v_mul_lo_u16_e32 v1, 0x55, v1
	s_load_dwordx2 s[6:7], s[4:5], 0x0
	s_load_dwordx2 s[12:13], s[4:5], 0x38
	v_sub_u16_e32 v228, v0, v1
	v_lshrrev_b32_e32 v0, 1, v2
	v_lshl_add_u32 v0, v0, 1, v0
	v_sub_u32_e32 v0, v20, v0
	v_mul_u32_u24_e32 v229, 0x3a7, v0
	v_cmp_gt_u16_e64 s[0:1], 55, v228
	v_lshlrev_b32_e32 v245, 2, v228
	v_lshlrev_b32_e32 v43, 2, v229
	s_and_saveexec_b64 s[8:9], s[0:1]
	s_cbranch_execz .LBB0_3
; %bb.2:
	s_load_dwordx2 s[10:11], s[4:5], 0x18
	v_lshl_add_u32 v12, v228, 2, v43
	v_add_u32_e32 v13, v43, v245
	s_waitcnt lgkmcnt(0)
	s_load_dwordx4 s[16:19], s[10:11], 0x0
	s_waitcnt lgkmcnt(0)
	v_mad_u64_u32 v[0:1], s[10:11], s18, v20, 0
	v_mad_u64_u32 v[2:3], s[10:11], s16, v228, 0
	;; [unrolled: 1-line block ×4, first 2 shown]
	v_mov_b32_e32 v1, v4
	v_lshlrev_b64 v[0:1], 2, v[0:1]
	v_mov_b32_e32 v3, v5
	v_mov_b32_e32 v6, s3
	v_lshlrev_b64 v[2:3], 2, v[2:3]
	v_add_co_u32_e32 v0, vcc, s2, v0
	v_addc_co_u32_e32 v1, vcc, v6, v1, vcc
	v_add_co_u32_e32 v0, vcc, v0, v2
	s_mul_i32 s2, s17, 0xdc
	s_mul_hi_u32 s3, s16, 0xdc
	v_addc_co_u32_e32 v1, vcc, v1, v3, vcc
	s_add_i32 s2, s3, s2
	s_mul_i32 s3, s16, 0xdc
	v_mov_b32_e32 v3, s2
	v_add_co_u32_e32 v2, vcc, s3, v0
	v_addc_co_u32_e32 v3, vcc, v1, v3, vcc
	global_load_dword v4, v[0:1], off
	global_load_dword v5, v[2:3], off
	global_load_dword v6, v245, s[6:7]
	global_load_dword v7, v245, s[6:7] offset:220
	v_mov_b32_e32 v1, s2
	v_add_co_u32_e32 v0, vcc, s3, v2
	v_addc_co_u32_e32 v1, vcc, v3, v1, vcc
	global_load_dword v2, v[0:1], off
	global_load_dword v3, v245, s[6:7] offset:440
	v_mov_b32_e32 v8, s2
	v_add_co_u32_e32 v0, vcc, s3, v0
	v_addc_co_u32_e32 v1, vcc, v1, v8, vcc
	global_load_dword v8, v[0:1], off
	;; [unrolled: 5-line block ×3, first 2 shown]
	global_load_dword v11, v245, s[6:7] offset:880
	v_mov_b32_e32 v17, s2
	v_add_co_u32_e32 v0, vcc, s3, v0
	v_addc_co_u32_e32 v1, vcc, v1, v17, vcc
	global_load_dword v14, v245, s[6:7] offset:1100
	global_load_dword v15, v245, s[6:7] offset:1320
	;; [unrolled: 1-line block ×3, first 2 shown]
	v_mov_b32_e32 v18, s2
	global_load_dword v17, v[0:1], off
	v_add_co_u32_e32 v0, vcc, s3, v0
	v_addc_co_u32_e32 v1, vcc, v1, v18, vcc
	v_mov_b32_e32 v19, s2
	global_load_dword v18, v[0:1], off
	v_add_co_u32_e32 v0, vcc, s3, v0
	v_addc_co_u32_e32 v1, vcc, v1, v19, vcc
	v_mov_b32_e32 v25, s2
	v_mov_b32_e32 v27, s2
	v_mov_b32_e32 v29, s2
	v_mov_b32_e32 v31, s2
	s_waitcnt vmcnt(14)
	v_lshrrev_b32_e32 v19, 16, v4
	s_waitcnt vmcnt(12)
	v_mul_f16_sdwa v21, v6, v4 dst_sel:DWORD dst_unused:UNUSED_PAD src0_sel:WORD_1 src1_sel:DWORD
	v_mul_f16_sdwa v22, v6, v19 dst_sel:DWORD dst_unused:UNUSED_PAD src0_sel:WORD_1 src1_sel:DWORD
	v_fma_f16 v19, v6, v19, -v21
	v_lshrrev_b32_e32 v21, 16, v5
	s_waitcnt vmcnt(11)
	v_mul_f16_sdwa v23, v7, v5 dst_sel:DWORD dst_unused:UNUSED_PAD src0_sel:WORD_1 src1_sel:DWORD
	v_fma_f16 v4, v6, v4, v22
	v_mul_f16_sdwa v6, v7, v21 dst_sel:DWORD dst_unused:UNUSED_PAD src0_sel:WORD_1 src1_sel:DWORD
	s_waitcnt vmcnt(10)
	v_lshrrev_b32_e32 v22, 16, v2
	v_fma_f16 v21, v7, v21, -v23
	s_waitcnt vmcnt(9)
	v_mul_f16_sdwa v23, v3, v2 dst_sel:DWORD dst_unused:UNUSED_PAD src0_sel:WORD_1 src1_sel:DWORD
	v_fma_f16 v5, v7, v5, v6
	v_mul_f16_sdwa v6, v3, v22 dst_sel:DWORD dst_unused:UNUSED_PAD src0_sel:WORD_1 src1_sel:DWORD
	v_pack_b32_f16 v4, v4, v19
	v_fma_f16 v7, v3, v22, -v23
	v_fma_f16 v2, v3, v2, v6
	s_waitcnt vmcnt(8)
	v_lshrrev_b32_e32 v19, 16, v8
	ds_write_b32 v12, v4
	v_pack_b32_f16 v4, v5, v21
	v_pack_b32_f16 v2, v2, v7
	s_waitcnt vmcnt(7)
	v_mul_f16_sdwa v22, v9, v8 dst_sel:DWORD dst_unused:UNUSED_PAD src0_sel:WORD_1 src1_sel:DWORD
	v_mul_f16_sdwa v3, v9, v19 dst_sel:DWORD dst_unused:UNUSED_PAD src0_sel:WORD_1 src1_sel:DWORD
	ds_write2_b32 v13, v4, v2 offset0:55 offset1:110
	global_load_dword v4, v[0:1], off
	v_fma_f16 v5, v9, v19, -v22
	v_fma_f16 v3, v9, v8, v3
	s_waitcnt vmcnt(7)
	v_lshrrev_b32_e32 v6, 16, v10
	v_pack_b32_f16 v2, v3, v5
	v_mov_b32_e32 v5, s2
	v_add_co_u32_e32 v0, vcc, s3, v0
	s_waitcnt vmcnt(6)
	v_mul_f16_sdwa v7, v11, v6 dst_sel:DWORD dst_unused:UNUSED_PAD src0_sel:WORD_1 src1_sel:DWORD
	v_addc_co_u32_e32 v1, vcc, v1, v5, vcc
	v_fma_f16 v3, v11, v10, v7
	global_load_dword v5, v[0:1], off
	global_load_dword v7, v245, s[6:7] offset:1760
	v_mov_b32_e32 v8, s2
	v_add_co_u32_e32 v0, vcc, s3, v0
	v_addc_co_u32_e32 v1, vcc, v1, v8, vcc
	global_load_dword v8, v[0:1], off
	global_load_dword v9, v245, s[6:7] offset:1980
	v_mul_f16_sdwa v12, v11, v10 dst_sel:DWORD dst_unused:UNUSED_PAD src0_sel:WORD_1 src1_sel:DWORD
	v_mov_b32_e32 v10, s2
	v_add_co_u32_e32 v0, vcc, s3, v0
	v_addc_co_u32_e32 v1, vcc, v1, v10, vcc
	global_load_dword v10, v[0:1], off
	global_load_dword v19, v245, s[6:7] offset:2200
	v_mov_b32_e32 v21, s2
	v_add_co_u32_e32 v0, vcc, s3, v0
	v_addc_co_u32_e32 v1, vcc, v1, v21, vcc
	global_load_dword v21, v[0:1], off
	global_load_dword v22, v245, s[6:7] offset:2420
	;; [unrolled: 5-line block ×3, first 2 shown]
	v_add_co_u32_e32 v0, vcc, s3, v0
	v_addc_co_u32_e32 v1, vcc, v1, v25, vcc
	global_load_dword v25, v[0:1], off
	global_load_dword v26, v245, s[6:7] offset:2860
	v_add_co_u32_e32 v0, vcc, s3, v0
	v_addc_co_u32_e32 v1, vcc, v1, v27, vcc
	global_load_dword v27, v[0:1], off
	global_load_dword v28, v245, s[6:7] offset:3080
	;; [unrolled: 4-line block ×4, first 2 shown]
	v_fma_f16 v0, v11, v6, -v12
	v_pack_b32_f16 v0, v3, v0
	ds_write2_b32 v13, v2, v0 offset0:165 offset1:220
	s_waitcnt vmcnt(20)
	v_lshrrev_b32_e32 v0, 16, v17
	v_mul_f16_sdwa v1, v14, v0 dst_sel:DWORD dst_unused:UNUSED_PAD src0_sel:WORD_1 src1_sel:DWORD
	v_mul_f16_sdwa v2, v14, v17 dst_sel:DWORD dst_unused:UNUSED_PAD src0_sel:WORD_1 src1_sel:DWORD
	v_fma_f16 v1, v14, v17, v1
	v_fma_f16 v0, v14, v0, -v2
	v_pack_b32_f16 v0, v1, v0
	s_waitcnt vmcnt(19)
	v_lshrrev_b32_e32 v1, 16, v18
	v_mul_f16_sdwa v2, v15, v1 dst_sel:DWORD dst_unused:UNUSED_PAD src0_sel:WORD_1 src1_sel:DWORD
	v_mul_f16_sdwa v3, v15, v18 dst_sel:DWORD dst_unused:UNUSED_PAD src0_sel:WORD_1 src1_sel:DWORD
	v_fma_f16 v2, v15, v18, v2
	v_fma_f16 v1, v15, v1, -v3
	v_pack_b32_f16 v1, v2, v1
	v_add_u32_e32 v2, 0x400, v13
	ds_write2_b32 v2, v0, v1 offset0:19 offset1:74
	s_waitcnt vmcnt(18)
	v_lshrrev_b32_e32 v0, 16, v4
	v_mul_f16_sdwa v1, v16, v0 dst_sel:DWORD dst_unused:UNUSED_PAD src0_sel:WORD_1 src1_sel:DWORD
	v_mul_f16_sdwa v3, v16, v4 dst_sel:DWORD dst_unused:UNUSED_PAD src0_sel:WORD_1 src1_sel:DWORD
	v_fma_f16 v1, v16, v4, v1
	v_fma_f16 v0, v16, v0, -v3
	v_pack_b32_f16 v0, v1, v0
	s_waitcnt vmcnt(17)
	v_lshrrev_b32_e32 v1, 16, v5
	s_waitcnt vmcnt(16)
	v_mul_f16_sdwa v3, v7, v1 dst_sel:DWORD dst_unused:UNUSED_PAD src0_sel:WORD_1 src1_sel:DWORD
	v_mul_f16_sdwa v4, v7, v5 dst_sel:DWORD dst_unused:UNUSED_PAD src0_sel:WORD_1 src1_sel:DWORD
	v_fma_f16 v3, v7, v5, v3
	v_fma_f16 v1, v7, v1, -v4
	v_pack_b32_f16 v1, v3, v1
	ds_write2_b32 v2, v0, v1 offset0:129 offset1:184
	s_waitcnt vmcnt(15)
	v_lshrrev_b32_e32 v0, 16, v8
	s_waitcnt vmcnt(14)
	v_mul_f16_sdwa v1, v9, v0 dst_sel:DWORD dst_unused:UNUSED_PAD src0_sel:WORD_1 src1_sel:DWORD
	v_mul_f16_sdwa v2, v9, v8 dst_sel:DWORD dst_unused:UNUSED_PAD src0_sel:WORD_1 src1_sel:DWORD
	v_fma_f16 v1, v9, v8, v1
	v_fma_f16 v0, v9, v0, -v2
	v_pack_b32_f16 v0, v1, v0
	s_waitcnt vmcnt(13)
	v_lshrrev_b32_e32 v1, 16, v10
	s_waitcnt vmcnt(12)
	v_mul_f16_sdwa v2, v19, v1 dst_sel:DWORD dst_unused:UNUSED_PAD src0_sel:WORD_1 src1_sel:DWORD
	v_mul_f16_sdwa v3, v19, v10 dst_sel:DWORD dst_unused:UNUSED_PAD src0_sel:WORD_1 src1_sel:DWORD
	v_fma_f16 v2, v19, v10, v2
	v_fma_f16 v1, v19, v1, -v3
	v_pack_b32_f16 v1, v2, v1
	v_add_u32_e32 v2, 0x600, v13
	ds_write2_b32 v2, v0, v1 offset0:111 offset1:166
	s_waitcnt vmcnt(11)
	v_lshrrev_b32_e32 v0, 16, v21
	s_waitcnt vmcnt(10)
	v_mul_f16_sdwa v1, v22, v0 dst_sel:DWORD dst_unused:UNUSED_PAD src0_sel:WORD_1 src1_sel:DWORD
	v_mul_f16_sdwa v2, v22, v21 dst_sel:DWORD dst_unused:UNUSED_PAD src0_sel:WORD_1 src1_sel:DWORD
	v_fma_f16 v1, v22, v21, v1
	v_fma_f16 v0, v22, v0, -v2
	v_pack_b32_f16 v0, v1, v0
	s_waitcnt vmcnt(9)
	v_lshrrev_b32_e32 v1, 16, v23
	s_waitcnt vmcnt(8)
	v_mul_f16_sdwa v2, v24, v1 dst_sel:DWORD dst_unused:UNUSED_PAD src0_sel:WORD_1 src1_sel:DWORD
	v_mul_f16_sdwa v3, v24, v23 dst_sel:DWORD dst_unused:UNUSED_PAD src0_sel:WORD_1 src1_sel:DWORD
	v_fma_f16 v2, v24, v23, v2
	v_fma_f16 v1, v24, v1, -v3
	v_pack_b32_f16 v1, v2, v1
	v_add_u32_e32 v2, 0x800, v13
	;; [unrolled: 18-line block ×4, first 2 shown]
	ds_write2_b32 v2, v0, v1 offset0:57 offset1:112
.LBB0_3:
	s_or_b64 exec, exec, s[8:9]
	s_load_dwordx2 s[2:3], s[4:5], 0x20
	s_load_dwordx2 s[14:15], s[4:5], 0x8
	v_mov_b32_e32 v0, 0
	s_waitcnt lgkmcnt(0)
	s_barrier
	s_waitcnt lgkmcnt(0)
                                        ; implicit-def: $vgpr16
                                        ; implicit-def: $vgpr5
                                        ; implicit-def: $vgpr3
                                        ; implicit-def: $vgpr9
                                        ; implicit-def: $vgpr7
                                        ; implicit-def: $vgpr11
                                        ; implicit-def: $vgpr13
                                        ; implicit-def: $vgpr15
                                        ; implicit-def: $vgpr47
	s_and_saveexec_b64 s[4:5], s[0:1]
	s_cbranch_execz .LBB0_5
; %bb.4:
	v_lshl_add_u32 v16, v229, 2, v245
	v_add_u32_e32 v2, 0x200, v16
	ds_read2_b32 v[0:1], v16 offset1:55
	ds_read2_b32 v[14:15], v16 offset0:110 offset1:165
	ds_read2_b32 v[12:13], v2 offset0:92 offset1:147
	v_add_u32_e32 v2, 0x400, v16
	ds_read2_b32 v[10:11], v2 offset0:74 offset1:129
	ds_read2_b32 v[6:7], v2 offset0:184 offset1:239
	v_add_u32_e32 v2, 0x800, v16
	v_add_u32_e32 v4, 0xc00, v16
	ds_read2_b32 v[8:9], v2 offset0:38 offset1:93
	ds_read2_b32 v[2:3], v2 offset0:148 offset1:203
	ds_read2_b32 v[4:5], v4 offset0:2 offset1:57
	ds_read_b32 v16, v16 offset:3520
	s_waitcnt lgkmcnt(7)
	v_alignbit_b32 v47, v14, v14, 16
.LBB0_5:
	s_or_b64 exec, exec, s[4:5]
	s_waitcnt lgkmcnt(0)
	v_pk_add_f16 v17, v1, v16 neg_lo:[0,1] neg_hi:[0,1]
	s_mov_b32 s18, 0xbbf7
	v_pk_add_f16 v14, v16, v1
	s_movk_i32 s16, 0x2de8
	v_mul_f16_sdwa v32, v17, s18 dst_sel:DWORD dst_unused:UNUSED_PAD src0_sel:WORD_1 src1_sel:DWORD
	s_mov_b32 s17, 0xbbb2
	v_fma_f16 v18, v14, s16, v32
	s_mov_b32 s11, 0xb461
	v_mul_f16_sdwa v36, v17, s17 dst_sel:DWORD dst_unused:UNUSED_PAD src0_sel:WORD_1 src1_sel:DWORD
	v_add_f16_e32 v21, v18, v0
	v_fma_f16 v18, v14, s11, v36
	v_add_f16_e32 v22, v18, v0
	v_pk_add_f16 v18, v5, v47 op_sel:[1,0] op_sel_hi:[0,1]
	v_pk_add_f16 v19, v47, v5 op_sel:[1,0] op_sel_hi:[0,1] neg_lo:[0,1] neg_hi:[0,1]
	s_mov_b32 s21, 0xb1e1
	v_lshrrev_b32_e32 v60, 16, v18
	s_mov_b32 s19, 0xbbdd
	v_mul_f16_sdwa v37, v19, s21 dst_sel:DWORD dst_unused:UNUSED_PAD src0_sel:WORD_1 src1_sel:DWORD
	s_movk_i32 s5, 0x3836
	v_fma_f16 v23, v60, s19, v37
	s_mov_b32 s20, 0xbacd
	v_mul_f16_sdwa v54, v19, s5 dst_sel:DWORD dst_unused:UNUSED_PAD src0_sel:WORD_1 src1_sel:DWORD
	v_add_f16_e32 v21, v23, v21
	v_fma_f16 v23, v60, s20, v54
	s_movk_i32 s5, 0x3bb2
	v_pk_add_f16 v24, v15, v4 neg_lo:[0,1] neg_hi:[0,1]
	v_add_f16_e32 v22, v23, v22
	v_pk_add_f16 v23, v4, v15
	v_mul_f16_sdwa v55, v24, s5 dst_sel:DWORD dst_unused:UNUSED_PAD src0_sel:WORD_1 src1_sel:DWORD
	s_movk_i32 s22, 0x3964
	s_movk_i32 s9, 0x39e9
	v_fma_f16 v25, v23, s11, v55
	v_mul_f16_sdwa v57, v24, s22 dst_sel:DWORD dst_unused:UNUSED_PAD src0_sel:WORD_1 src1_sel:DWORD
	v_add_f16_e32 v21, v25, v21
	v_fma_f16 v25, v23, s9, v57
	v_pk_add_f16 v28, v12, v3 neg_lo:[0,1] neg_hi:[0,1]
	s_movk_i32 s24, 0x35c8
	s_movk_i32 s8, 0x3b76
	s_mov_b32 s4, 0xbb29
	v_add_f16_e32 v22, v25, v22
	v_pk_add_f16 v25, v3, v12
	v_mul_f16_sdwa v56, v28, s24 dst_sel:DWORD dst_unused:UNUSED_PAD src0_sel:WORD_1 src1_sel:DWORD
	s_movk_i32 s10, 0x3722
	v_fma_f16 v26, v25, s8, v56
	v_mul_f16_sdwa v59, v28, s4 dst_sel:DWORD dst_unused:UNUSED_PAD src0_sel:WORD_1 src1_sel:DWORD
	v_pk_add_f16 v30, v13, v2 neg_lo:[0,1] neg_hi:[0,1]
	v_add_f16_e32 v21, v26, v21
	v_fma_f16 v26, v25, s10, v59
	v_pk_add_f16 v29, v2, v13
	v_mul_f16_sdwa v58, v30, s4 dst_sel:DWORD dst_unused:UNUSED_PAD src0_sel:WORD_1 src1_sel:DWORD
	v_add_f16_e32 v22, v26, v22
	s_mov_b32 s23, 0xb836
	v_fma_f16 v26, v29, s10, v58
	v_mul_f16_sdwa v62, v30, s21 dst_sel:DWORD dst_unused:UNUSED_PAD src0_sel:WORD_1 src1_sel:DWORD
	v_pk_add_f16 v34, v10, v9 neg_lo:[0,1] neg_hi:[0,1]
	v_add_f16_e32 v21, v26, v21
	v_fma_f16 v26, v29, s19, v62
	v_pk_add_f16 v31, v9, v10
	v_mul_f16_sdwa v61, v34, s23 dst_sel:DWORD dst_unused:UNUSED_PAD src0_sel:WORD_1 src1_sel:DWORD
	s_movk_i32 s26, 0x3bf7
	v_add_f16_e32 v22, v26, v22
	v_fma_f16 v26, v31, s20, v61
	v_mul_f16_sdwa v63, v34, s26 dst_sel:DWORD dst_unused:UNUSED_PAD src0_sel:WORD_1 src1_sel:DWORD
	s_movk_i32 s27, 0x3a62
	v_pk_add_f16 v39, v11, v8 neg_lo:[0,1] neg_hi:[0,1]
	v_add_f16_e32 v21, v26, v21
	v_fma_f16 v26, v31, s16, v63
	s_mov_b32 s25, 0xb8d2
	v_pk_add_f16 v35, v8, v11
	v_mul_f16_sdwa v64, v39, s27 dst_sel:DWORD dst_unused:UNUSED_PAD src0_sel:WORD_1 src1_sel:DWORD
	s_mov_b32 s28, 0xb5c8
	v_add_f16_e32 v22, v26, v22
	v_fma_f16 v26, v35, s25, v64
	v_mul_f16_sdwa v69, v39, s28 dst_sel:DWORD dst_unused:UNUSED_PAD src0_sel:WORD_1 src1_sel:DWORD
	v_pk_add_f16 v51, v6, v7 neg_lo:[0,1] neg_hi:[0,1]
	v_add_f16_e32 v21, v26, v21
	v_fma_f16 v26, v35, s8, v69
	s_mov_b32 s29, 0xba62
	v_pk_add_f16 v38, v7, v6
	v_mul_f16_sdwa v71, v51, s22 dst_sel:DWORD dst_unused:UNUSED_PAD src0_sel:WORD_1 src1_sel:DWORD
	v_add_f16_e32 v22, v26, v22
	v_fma_f16 v26, v38, s9, v71
	v_mul_f16_sdwa v78, v51, s29 dst_sel:DWORD dst_unused:UNUSED_PAD src0_sel:WORD_1 src1_sel:DWORD
	v_add_f16_e32 v27, v26, v21
	v_fma_f16 v21, v38, s25, v78
	v_mul_f16_sdwa v65, v17, s28 dst_sel:DWORD dst_unused:UNUSED_PAD src0_sel:WORD_1 src1_sel:DWORD
	s_mov_b32 s30, 0xb964
	v_add_f16_e32 v26, v21, v22
	v_fma_f16 v21, v14, s8, v65
	v_mul_f16_sdwa v66, v19, s30 dst_sel:DWORD dst_unused:UNUSED_PAD src0_sel:WORD_1 src1_sel:DWORD
	v_add_f16_e32 v21, v21, v0
	v_fma_f16 v22, v60, s9, v66
	v_lshrrev_b32_e32 v129, 16, v14
	v_mul_f16_e32 v67, 0xb964, v17
	v_add_f16_e32 v21, v22, v21
	v_fma_f16 v22, v129, s9, -v67
	v_mul_f16_e32 v68, 0xbbf7, v19
	v_add_f16_sdwa v22, v22, v0 dst_sel:DWORD dst_unused:UNUSED_PAD src0_sel:DWORD src1_sel:WORD_1
	v_fma_f16 v33, v18, s16, -v68
	v_mul_f16_sdwa v72, v17, s4 dst_sel:DWORD dst_unused:UNUSED_PAD src0_sel:WORD_1 src1_sel:DWORD
	v_add_f16_e32 v22, v33, v22
	v_fma_f16 v33, v14, s10, v72
	v_mul_f16_sdwa v73, v19, s29 dst_sel:DWORD dst_unused:UNUSED_PAD src0_sel:WORD_1 src1_sel:DWORD
	v_add_f16_e32 v33, v33, v0
	v_fma_f16 v40, v60, s25, v73
	v_mul_f16_e32 v76, 0xbb29, v17
	v_add_f16_e32 v33, v40, v33
	v_fma_f16 v40, v129, s10, -v76
	v_mul_f16_e32 v77, 0xba62, v19
	v_add_f16_sdwa v40, v40, v0 dst_sel:DWORD dst_unused:UNUSED_PAD src0_sel:DWORD src1_sel:WORD_1
	v_fma_f16 v41, v18, s25, -v77
	v_mul_f16_e32 v83, 0xbbf7, v17
	v_add_f16_e32 v40, v41, v40
	v_fma_f16 v41, v129, s16, -v83
	v_mul_f16_e32 v84, 0xb1e1, v19
	v_add_f16_sdwa v41, v41, v0 dst_sel:DWORD dst_unused:UNUSED_PAD src0_sel:DWORD src1_sel:WORD_1
	v_fma_f16 v46, v18, s19, -v84
	;; [unrolled: 6-line block ×3, first 2 shown]
	v_mul_f16_sdwa v100, v17, s29 dst_sel:DWORD dst_unused:UNUSED_PAD src0_sel:WORD_1 src1_sel:DWORD
	v_add_f16_e32 v46, v48, v46
	v_fma_f16 v48, v14, s25, v100
	v_mul_f16_sdwa v101, v19, s5 dst_sel:DWORD dst_unused:UNUSED_PAD src0_sel:WORD_1 src1_sel:DWORD
	v_add_f16_e32 v48, v48, v0
	v_fma_f16 v49, v60, s11, v101
	v_mul_f16_e32 v107, 0xba62, v17
	v_add_f16_e32 v48, v49, v48
	v_fma_f16 v49, v129, s25, -v107
	v_mul_f16_e32 v108, 0x3bb2, v19
	v_add_f16_sdwa v49, v49, v0 dst_sel:DWORD dst_unused:UNUSED_PAD src0_sel:DWORD src1_sel:WORD_1
	v_fma_f16 v50, v18, s11, -v108
	v_mul_f16_sdwa v70, v24, s4 dst_sel:DWORD dst_unused:UNUSED_PAD src0_sel:WORD_1 src1_sel:DWORD
	v_add_f16_e32 v49, v50, v49
	v_fma_f16 v50, v23, s10, v70
	v_lshrrev_b32_e32 v139, 16, v23
	v_mul_f16_e32 v75, 0xba62, v24
	s_movk_i32 s4, 0x31e1
	v_add_f16_e32 v21, v50, v21
	v_fma_f16 v50, v139, s25, -v75
	v_mul_f16_sdwa v80, v24, s4 dst_sel:DWORD dst_unused:UNUSED_PAD src0_sel:WORD_1 src1_sel:DWORD
	v_add_f16_e32 v22, v50, v22
	v_fma_f16 v50, v23, s19, v80
	v_mul_f16_e32 v82, 0x31e1, v24
	v_add_f16_e32 v33, v50, v33
	v_fma_f16 v50, v139, s19, -v82
	v_mul_f16_e32 v92, 0x3bb2, v24
	v_add_f16_e32 v40, v50, v40
	v_fma_f16 v50, v139, s11, -v92
	v_mul_f16_e32 v103, 0x3964, v24
	v_add_f16_e32 v41, v50, v41
	v_fma_f16 v50, v139, s9, -v103
	v_mul_f16_sdwa v109, v24, s28 dst_sel:DWORD dst_unused:UNUSED_PAD src0_sel:WORD_1 src1_sel:DWORD
	v_add_f16_e32 v46, v50, v46
	v_fma_f16 v50, v23, s8, v109
	v_mul_f16_e32 v120, 0xb5c8, v24
	v_add_f16_e32 v48, v50, v48
	v_fma_f16 v50, v139, s8, -v120
	v_mul_f16_sdwa v74, v28, s18 dst_sel:DWORD dst_unused:UNUSED_PAD src0_sel:WORD_1 src1_sel:DWORD
	v_add_f16_e32 v49, v50, v49
	v_fma_f16 v50, v25, s16, v74
	v_lshrrev_b32_e32 v143, 16, v25
	v_mul_f16_e32 v81, 0xb1e1, v28
	v_add_f16_e32 v21, v50, v21
	v_fma_f16 v50, v143, s19, -v81
	v_mul_f16_sdwa v86, v28, s5 dst_sel:DWORD dst_unused:UNUSED_PAD src0_sel:WORD_1 src1_sel:DWORD
	v_add_f16_e32 v22, v50, v22
	v_fma_f16 v50, v25, s11, v86
	v_mul_f16_e32 v88, 0x3bb2, v28
	v_add_f16_e32 v33, v50, v33
	v_fma_f16 v50, v143, s11, -v88
	v_mul_f16_e32 v99, 0x35c8, v28
	v_add_f16_e32 v40, v50, v40
	v_fma_f16 v50, v143, s8, -v99
	v_mul_f16_e32 v111, 0xbb29, v28
	v_add_f16_e32 v41, v50, v41
	v_fma_f16 v50, v143, s10, -v111
	v_mul_f16_sdwa v123, v28, s23 dst_sel:DWORD dst_unused:UNUSED_PAD src0_sel:WORD_1 src1_sel:DWORD
	v_add_f16_e32 v46, v50, v46
	v_fma_f16 v50, v25, s20, v123
	v_mul_f16_e32 v134, 0xb836, v28
	v_add_f16_e32 v48, v50, v48
	v_fma_f16 v50, v143, s20, -v134
	v_mul_f16_sdwa v79, v30, s17 dst_sel:DWORD dst_unused:UNUSED_PAD src0_sel:WORD_1 src1_sel:DWORD
	v_add_f16_e32 v49, v50, v49
	v_fma_f16 v50, v29, s11, v79
	v_lshrrev_b32_e32 v145, 16, v29
	v_mul_f16_e32 v87, 0x3836, v30
	;; [unrolled: 25-line block ×5, first 2 shown]
	v_add_f16_e32 v42, v48, v21
	v_fma_f16 v21, v152, s8, -v105
	v_mul_f16_e32 v126, 0xb836, v51
	v_add_f16_e32 v234, v21, v22
	v_fma_f16 v22, v152, s20, -v126
	v_mul_f16_e32 v140, 0x3964, v51
	;; [unrolled: 3-line block ×4, first 2 shown]
	v_add_f16_e32 v52, v22, v46
	v_fma_f16 v22, v152, s10, -v153
	s_mov_b32 s4, 0x3b7639e9
	v_add_f16_e32 v53, v22, v50
	s_mov_b32 s5, 0xb964b5c8
	v_pk_mul_f16 v22, v14, s4
	v_pk_fma_f16 v113, v17, s5, v22 op_sel:[0,0,1] op_sel_hi:[1,1,0] neg_lo:[1,0,0] neg_hi:[1,0,0]
	v_pk_fma_f16 v114, v17, s5, v22 op_sel:[0,0,1] op_sel_hi:[1,1,0]
	s_mov_b32 s5, 0xbbf7b964
	s_mov_b32 s4, 0x2de839e9
	v_pk_mul_f16 v22, v19, s5
	v_pk_fma_f16 v115, v18, s4, v22 neg_lo:[0,0,1] neg_hi:[0,0,1]
	v_pk_fma_f16 v116, v18, s4, v22
	s_mov_b32 s4, 0x3722b8d2
	s_mov_b32 s5, 0xba62bb29
	v_pk_mul_f16 v22, v23, s4
	s_mov_b32 s4, 0x2de8bbdd
	v_pk_fma_f16 v118, v24, s5, v22 op_sel:[0,0,1] op_sel_hi:[1,1,0] neg_lo:[1,0,0] neg_hi:[1,0,0]
	v_pk_fma_f16 v119, v24, s5, v22 op_sel:[0,0,1] op_sel_hi:[1,1,0]
	s_mov_b32 s5, 0xb1e1bbf7
	v_pk_mul_f16 v22, v25, s4
	s_mov_b32 s4, 0xb461bacd
	v_pk_fma_f16 v121, v28, s5, v22 op_sel:[0,0,1] op_sel_hi:[1,1,0] neg_lo:[1,0,0] neg_hi:[1,0,0]
	v_pk_fma_f16 v122, v28, s5, v22 op_sel:[0,0,1] op_sel_hi:[1,1,0]
	;; [unrolled: 5-line block ×4, first 2 shown]
	s_mov_b32 s5, 0x3b29b836
	v_pk_mul_f16 v22, v35, s4
	v_pk_fma_f16 v131, v39, s5, v22 op_sel:[0,0,1] op_sel_hi:[1,1,0] neg_lo:[1,0,0] neg_hi:[1,0,0]
	v_pk_fma_f16 v132, v39, s5, v22 op_sel:[0,0,1] op_sel_hi:[1,1,0]
	v_add_f16_sdwa v22, v113, v0 dst_sel:DWORD dst_unused:UNUSED_PAD src0_sel:DWORD src1_sel:WORD_1
	v_add_f16_e32 v22, v115, v22
	v_add_f16_e32 v22, v118, v22
	v_mul_f16_sdwa v112, v51, s23 dst_sel:DWORD dst_unused:UNUSED_PAD src0_sel:WORD_1 src1_sel:DWORD
	v_add_f16_e32 v22, v121, v22
	v_fma_f16 v21, v38, s20, v112
	s_mov_b32 s4, 0xbbdd3b76
	v_add_f16_e32 v22, v124, v22
	v_add_f16_e32 v21, v21, v33
	s_mov_b32 s5, 0x35c8b1e1
	v_add_f16_e32 v22, v128, v22
	v_pk_mul_f16 v33, v38, s4
	v_add_f16_e32 v22, v131, v22
	v_pk_fma_f16 v135, v51, s5, v33 op_sel:[0,0,1] op_sel_hi:[1,1,0] neg_lo:[1,0,0] neg_hi:[1,0,0]
	v_add_f16_e32 v236, v135, v22
	v_add_f16_sdwa v22, v114, v0 dst_sel:DWORD dst_unused:UNUSED_PAD src0_sel:WORD_1 src1_sel:DWORD
	v_add_f16_sdwa v22, v116, v22 dst_sel:DWORD dst_unused:UNUSED_PAD src0_sel:WORD_1 src1_sel:DWORD
	;; [unrolled: 1-line block ×4, first 2 shown]
	s_movk_i32 s30, 0x3b29
	v_add_f16_sdwa v22, v125, v22 dst_sel:DWORD dst_unused:UNUSED_PAD src0_sel:WORD_1 src1_sel:DWORD
	v_add_f16_sdwa v22, v130, v22 dst_sel:DWORD dst_unused:UNUSED_PAD src0_sel:WORD_1 src1_sel:DWORD
	v_mul_f16_sdwa v154, v51, s30 dst_sel:DWORD dst_unused:UNUSED_PAD src0_sel:WORD_1 src1_sel:DWORD
	v_pk_fma_f16 v137, v51, s5, v33 op_sel:[0,0,1] op_sel_hi:[1,1,0]
	v_add_f16_sdwa v22, v132, v22 dst_sel:DWORD dst_unused:UNUSED_PAD src0_sel:WORD_1 src1_sel:DWORD
	v_fma_f16 v33, v38, s10, v154
	v_add_f16_e32 v33, v33, v155
	v_add_f16_sdwa v22, v137, v22 dst_sel:DWORD dst_unused:UNUSED_PAD src0_sel:WORD_1 src1_sel:DWORD
	v_mul_lo_u16_e32 v44, 17, v228
	s_barrier
	s_and_saveexec_b64 s[4:5], s[0:1]
	s_cbranch_execz .LBB0_7
; %bb.6:
	v_mul_f16_e32 v160, 0x2de8, v14
	v_mul_f16_e32 v169, 0xbbdd, v60
	v_sub_f16_e32 v32, v160, v32
	v_mul_f16_e32 v178, 0xb461, v23
	v_add_f16_e32 v32, v32, v0
	v_sub_f16_e32 v37, v169, v37
	v_mul_f16_e32 v187, 0x3b76, v25
	v_add_f16_e32 v32, v37, v32
	;; [unrolled: 3-line block ×7, first 2 shown]
	v_sub_f16_e32 v37, v223, v71
	v_mul_f16_e32 v162, 0xb461, v14
	v_mul_f16_e32 v168, 0xb8d2, v18
	v_add_f16_e32 v32, v37, v32
	v_add_f16_e32 v37, v76, v159
	v_mul_f16_e32 v171, 0xbacd, v60
	v_mul_f16_e32 v177, 0xbbdd, v139
	v_sub_f16_e32 v36, v162, v36
	v_add_f16_sdwa v37, v37, v0 dst_sel:DWORD dst_unused:UNUSED_PAD src0_sel:DWORD src1_sel:WORD_1
	v_add_f16_e32 v55, v77, v168
	v_mul_f16_e32 v180, 0x39e9, v23
	v_mul_f16_e32 v186, 0xb461, v143
	v_add_f16_e32 v36, v36, v0
	v_sub_f16_e32 v54, v171, v54
	v_add_f16_e32 v37, v55, v37
	v_add_f16_e32 v55, v82, v177
	v_mul_f16_e32 v189, 0x3722, v25
	v_mul_f16_e32 v195, 0x39e9, v145
	v_add_f16_e32 v36, v54, v36
	v_sub_f16_e32 v54, v180, v57
	v_add_f16_e32 v37, v55, v37
	v_add_f16_e32 v55, v88, v186
	v_mul_f16_e32 v198, 0xbbdd, v29
	v_mul_f16_e32 v204, 0x3b76, v149
	v_add_f16_e32 v36, v54, v36
	v_sub_f16_e32 v54, v189, v59
	v_add_f16_e32 v37, v55, v37
	v_add_f16_e32 v55, v95, v195
	v_mul_f16_e32 v207, 0x2de8, v31
	v_mul_f16_e32 v213, 0x2de8, v151
	v_add_f16_e32 v36, v54, v36
	v_sub_f16_e32 v54, v198, v62
	v_add_f16_e32 v37, v55, v37
	v_add_f16_e32 v55, v102, v204
	v_mul_f16_e32 v216, 0x3b76, v35
	v_mul_f16_e32 v222, 0xbacd, v152
	v_add_f16_e32 v36, v54, v36
	v_sub_f16_e32 v54, v207, v63
	v_add_f16_e32 v37, v55, v37
	v_add_f16_e32 v55, v110, v213
	v_mul_f16_e32 v158, 0x3722, v14
	v_mul_f16_e32 v225, 0xb8d2, v38
	v_add_f16_e32 v36, v54, v36
	v_sub_f16_e32 v54, v216, v69
	v_add_f16_e32 v37, v55, v37
	v_add_f16_e32 v55, v126, v222
	v_mul_f16_e32 v161, 0x2de8, v129
	v_mul_f16_e32 v167, 0xb8d2, v60
	v_add_f16_e32 v36, v54, v36
	v_sub_f16_e32 v54, v225, v78
	v_add_f16_e32 v37, v55, v37
	v_sub_f16_e32 v55, v158, v72
	v_mul_f16_e32 v170, 0xbbdd, v18
	v_mul_f16_e32 v176, 0xbbdd, v23
	v_add_f16_e32 v36, v54, v36
	v_add_f16_e32 v54, v83, v161
	;; [unrolled: 1-line block ×3, first 2 shown]
	v_sub_f16_e32 v56, v167, v73
	v_mul_f16_e32 v179, 0xb461, v139
	v_mul_f16_e32 v185, 0xb461, v25
	v_add_f16_sdwa v54, v54, v0 dst_sel:DWORD dst_unused:UNUSED_PAD src0_sel:DWORD src1_sel:WORD_1
	v_add_f16_e32 v57, v84, v170
	v_add_f16_e32 v55, v56, v55
	v_sub_f16_e32 v56, v176, v80
	v_mul_f16_e32 v188, 0x3b76, v143
	v_mul_f16_e32 v194, 0x39e9, v29
	v_add_f16_e32 v54, v57, v54
	v_add_f16_e32 v57, v92, v179
	;; [unrolled: 1-line block ×3, first 2 shown]
	v_sub_f16_e32 v56, v185, v86
	v_mul_f16_e32 v197, 0x3722, v145
	v_mul_f16_e32 v203, 0x3b76, v31
	v_add_f16_e32 v54, v57, v54
	v_add_f16_e32 v57, v99, v188
	;; [unrolled: 1-line block ×3, first 2 shown]
	v_sub_f16_e32 v56, v194, v90
	v_alignbit_b32 v155, v0, v0, 16
	v_mul_f16_e32 v206, 0xbacd, v149
	v_mul_f16_e32 v212, 0x2de8, v35
	v_add_f16_e32 v54, v57, v54
	v_add_f16_e32 v57, v106, v197
	;; [unrolled: 1-line block ×3, first 2 shown]
	v_sub_f16_e32 v56, v203, v97
	v_alignbit_b32 v47, v47, v47, 16
	v_mul_f16_e32 v215, 0xb8d2, v151
	v_mul_f16_e32 v221, 0xbacd, v38
	v_add_f16_e32 v54, v57, v54
	v_add_f16_e32 v57, v117, v206
	;; [unrolled: 1-line block ×3, first 2 shown]
	v_sub_f16_e32 v56, v212, v104
	v_pk_add_f16 v1, v1, v155 op_sel:[0,1] op_sel_hi:[1,0]
	v_mul_f16_e32 v157, 0x39e9, v129
	v_mul_f16_e32 v224, 0x39e9, v152
	v_add_f16_e32 v54, v57, v54
	v_add_f16_e32 v57, v133, v215
	;; [unrolled: 1-line block ×3, first 2 shown]
	v_sub_f16_e32 v56, v221, v112
	v_pk_add_f16 v1, v47, v1
	v_mul_f16_e32 v166, 0x2de8, v18
	v_add_f16_e32 v54, v57, v54
	v_add_f16_e32 v57, v140, v224
	;; [unrolled: 1-line block ×4, first 2 shown]
	v_pk_add_f16 v1, v15, v1
	v_mul_f16_e32 v175, 0xb8d2, v139
	v_add_f16_e32 v54, v57, v54
	v_add_f16_sdwa v56, v56, v0 dst_sel:DWORD dst_unused:UNUSED_PAD src0_sel:DWORD src1_sel:WORD_1
	v_add_f16_e32 v57, v68, v166
	v_pk_add_f16 v1, v12, v1
	v_mul_f16_e32 v184, 0xbbdd, v143
	v_add_f16_e32 v56, v57, v56
	v_add_f16_e32 v57, v75, v175
	v_pk_add_f16 v1, v13, v1
	v_mul_f16_e32 v193, 0xbacd, v145
	v_add_f16_e32 v56, v57, v56
	;; [unrolled: 4-line block ×5, first 2 shown]
	v_add_f16_e32 v57, v98, v211
	v_pk_add_f16 v1, v7, v1
	v_mul_f16_e32 v156, 0x3b76, v14
	v_mul_f16_e32 v163, 0xb461, v129
	v_mul_f16_e32 v164, 0xb8d2, v14
	v_mul_f16_e32 v129, 0xb8d2, v129
	v_add_f16_e32 v56, v57, v56
	v_add_f16_e32 v57, v105, v220
	s_mov_b32 s31, 0xffff
	v_pk_add_f16 v1, v8, v1
	v_mul_f16_e32 v165, 0x39e9, v60
	v_add_f16_e32 v107, v107, v129
	v_sub_f16_e32 v100, v164, v100
	v_add_f16_e32 v93, v93, v163
	v_add_f16_e32 v56, v57, v56
	v_bfi_b32 v57, s31, v114, v113
	v_sub_f16_e32 v65, v156, v65
	v_pk_add_f16 v1, v9, v1
	v_mul_f16_e32 v174, 0x3722, v23
	v_add_f16_sdwa v107, v107, v0 dst_sel:DWORD dst_unused:UNUSED_PAD src0_sel:DWORD src1_sel:WORD_1
	v_add_f16_e32 v100, v100, v0
	v_add_f16_sdwa v93, v93, v0 dst_sel:DWORD dst_unused:UNUSED_PAD src0_sel:DWORD src1_sel:WORD_1
	v_bfi_b32 v58, s31, v116, v115
	v_add_f16_e32 v0, v65, v0
	v_sub_f16_e32 v65, v165, v66
	v_pk_add_f16 v1, v2, v1
	v_pk_add_f16 v2, v57, v155
	v_mul_f16_e32 v172, 0xbacd, v18
	v_mul_f16_e32 v60, 0xb461, v60
	;; [unrolled: 1-line block ×4, first 2 shown]
	v_bfi_b32 v59, s31, v119, v118
	v_add_f16_e32 v0, v65, v0
	v_sub_f16_e32 v65, v174, v70
	v_pk_add_f16 v2, v58, v2
	v_mul_f16_e32 v181, 0x39e9, v139
	v_mul_f16_e32 v182, 0x3b76, v23
	v_mul_f16_e32 v139, 0x3b76, v139
	v_mul_f16_e32 v192, 0xb461, v29
	v_add_f16_e32 v108, v108, v173
	v_sub_f16_e32 v60, v60, v101
	v_add_f16_e32 v94, v94, v172
	v_bfi_b32 v61, s31, v122, v121
	v_add_f16_e32 v0, v65, v0
	v_sub_f16_e32 v65, v183, v74
	v_pk_add_f16 v2, v59, v2
	v_mul_f16_e32 v190, 0x3722, v143
	v_mul_f16_e32 v191, 0xbacd, v25
	v_mul_f16_e32 v143, 0xbacd, v143
	v_mul_f16_e32 v201, 0xb8d2, v31
	v_add_f16_e32 v107, v108, v107
	v_add_f16_e32 v108, v120, v139
	v_add_f16_e32 v60, v60, v100
	v_sub_f16_e32 v100, v182, v109
	v_add_f16_e32 v93, v94, v93
	v_add_f16_e32 v94, v103, v181
	v_bfi_b32 v62, s31, v125, v124
	v_add_f16_e32 v0, v65, v0
	v_sub_f16_e32 v65, v192, v79
	v_pk_add_f16 v2, v61, v2
	v_mul_f16_e32 v199, 0xbbdd, v145
	v_mul_f16_e32 v200, 0x2de8, v29
	v_mul_f16_e32 v145, 0x2de8, v145
	v_mul_f16_e32 v210, 0xbacd, v35
	v_add_f16_e32 v107, v108, v107
	v_add_f16_e32 v108, v134, v143
	v_add_f16_e32 v60, v100, v60
	v_sub_f16_e32 v100, v191, v123
	v_add_f16_e32 v93, v94, v93
	;; [unrolled: 14-line block ×3, first 2 shown]
	v_add_f16_e32 v94, v127, v199
	v_bfi_b32 v64, s31, v132, v131
	v_add_f16_e32 v0, v65, v0
	v_sub_f16_e32 v65, v210, v89
	v_pk_add_f16 v2, v63, v2
	v_mul_f16_e32 v217, 0x3b76, v151
	v_mul_f16_e32 v218, 0xbbdd, v35
	;; [unrolled: 1-line block ×3, first 2 shown]
	v_add_f16_e32 v107, v108, v107
	v_add_f16_e32 v108, v146, v149
	;; [unrolled: 1-line block ×3, first 2 shown]
	v_sub_f16_e32 v100, v209, v142
	v_add_f16_e32 v93, v94, v93
	v_add_f16_e32 v94, v138, v208
	v_bfi_b32 v67, s31, v137, v135
	v_add_f16_e32 v0, v65, v0
	v_sub_f16_e32 v65, v219, v96
	v_pk_add_f16 v2, v64, v2
	v_mul_f16_e32 v226, 0xb8d2, v152
	v_mul_f16_e32 v227, 0x3722, v38
	;; [unrolled: 1-line block ×3, first 2 shown]
	v_add_f16_e32 v107, v108, v107
	v_add_f16_e32 v108, v150, v151
	;; [unrolled: 1-line block ×3, first 2 shown]
	v_sub_f16_e32 v100, v218, v147
	v_add_f16_e32 v93, v94, v93
	v_add_f16_e32 v94, v144, v217
	;; [unrolled: 1-line block ×3, first 2 shown]
	v_pk_add_f16 v2, v67, v2
	v_add_f16_e32 v107, v108, v107
	v_add_f16_e32 v108, v153, v152
	;; [unrolled: 1-line block ×3, first 2 shown]
	v_sub_f16_e32 v100, v227, v154
	v_add_f16_e32 v93, v94, v93
	v_add_f16_e32 v94, v148, v226
	v_add_lshl_u32 v12, v229, v44, 2
	v_pk_add_f16 v1, v3, v1
	v_alignbit_b32 v3, v56, v2, 16
	v_pack_b32_f16 v0, v0, v2
	v_add_f16_e32 v107, v108, v107
	v_add_f16_e32 v60, v100, v60
	;; [unrolled: 1-line block ×3, first 2 shown]
	ds_write2_b32 v12, v0, v3 offset0:1 offset1:2
	v_pack_b32_f16 v0, v32, v54
	v_pack_b32_f16 v2, v55, v37
	ds_write2_b32 v12, v2, v0 offset0:3 offset1:4
	v_pack_b32_f16 v0, v60, v107
	v_pack_b32_f16 v2, v36, v93
	ds_write2_b32 v12, v2, v0 offset0:5 offset1:6
	v_pk_mul_f16 v0, v14, s19 op_sel_hi:[1,0]
	v_pk_fma_f16 v2, v17, s21, v0 op_sel:[0,0,1] op_sel_hi:[1,0,0] neg_lo:[1,0,0] neg_hi:[1,0,0]
	v_pk_mul_f16 v3, v19, s24 op_sel_hi:[1,0]
	v_pk_add_f16 v1, v4, v1
	v_pk_add_f16 v2, v2, v155
	v_pk_fma_f16 v4, v18, s8, v3 op_sel_hi:[1,0,1] neg_lo:[0,0,1] neg_hi:[0,0,1]
	v_pk_add_f16 v2, v4, v2
	v_pk_mul_f16 v4, v23, s20 op_sel_hi:[1,0]
	v_pk_add_f16 v1, v5, v1
	v_pk_fma_f16 v5, v24, s23, v4 op_sel:[0,0,1] op_sel_hi:[1,0,0] neg_lo:[1,0,0] neg_hi:[1,0,0]
	v_pk_add_f16 v2, v5, v2
	v_pk_mul_f16 v5, v25, s9 op_sel_hi:[1,0]
	v_pk_fma_f16 v6, v28, s22, v5 op_sel:[0,0,1] op_sel_hi:[1,0,0] neg_lo:[1,0,0] neg_hi:[1,0,0]
	v_pk_add_f16 v2, v6, v2
	v_pk_mul_f16 v6, v29, s25 op_sel_hi:[1,0]
	v_pk_fma_f16 v0, v17, s21, v0 op_sel:[0,0,1] op_sel_hi:[1,0,0]
	v_pk_fma_f16 v7, v30, s29, v6 op_sel:[0,0,1] op_sel_hi:[1,0,0] neg_lo:[1,0,0] neg_hi:[1,0,0]
	v_pk_add_f16 v0, v0, v155
	v_pk_fma_f16 v3, v18, s8, v3 op_sel_hi:[1,0,1]
	v_pk_add_f16 v2, v7, v2
	v_pk_mul_f16 v7, v31, s10 op_sel_hi:[1,0]
	v_pk_add_f16 v0, v3, v0
	v_pk_fma_f16 v3, v24, s23, v4 op_sel:[0,0,1] op_sel_hi:[1,0,0]
	v_pk_fma_f16 v8, v34, s30, v7 op_sel:[0,0,1] op_sel_hi:[1,0,0] neg_lo:[1,0,0] neg_hi:[1,0,0]
	v_pk_add_f16 v0, v3, v0
	v_pk_fma_f16 v3, v28, s22, v5 op_sel:[0,0,1] op_sel_hi:[1,0,0]
	v_pk_add_f16 v2, v8, v2
	v_pk_mul_f16 v8, v35, s11 op_sel_hi:[1,0]
	v_pk_add_f16 v0, v3, v0
	v_pk_fma_f16 v3, v30, s29, v6 op_sel:[0,0,1] op_sel_hi:[1,0,0]
	v_pk_fma_f16 v9, v39, s17, v8 op_sel:[0,0,1] op_sel_hi:[1,0,0] neg_lo:[1,0,0] neg_hi:[1,0,0]
	v_pk_add_f16 v0, v3, v0
	v_pk_fma_f16 v3, v34, s30, v7 op_sel:[0,0,1] op_sel_hi:[1,0,0]
	v_pk_add_f16 v2, v9, v2
	v_pk_mul_f16 v9, v38, s16 op_sel_hi:[1,0]
	v_pk_add_f16 v0, v3, v0
	v_pk_fma_f16 v3, v39, s17, v8 op_sel:[0,0,1] op_sel_hi:[1,0,0]
	v_pk_add_f16 v0, v3, v0
	v_pk_fma_f16 v3, v51, s26, v9 op_sel:[0,0,1] op_sel_hi:[1,0,0]
	v_pk_add_f16 v0, v3, v0
	v_pk_mul_f16 v3, v17, s23 op_sel_hi:[1,0]
	v_pk_fma_f16 v4, v14, s20, v3 op_sel:[0,0,1] op_sel_hi:[1,0,0]
	v_alignbit_b32 v5, s0, v4, 16
	v_pk_mul_f16 v6, v19, s30 op_sel_hi:[1,0]
	v_pk_mul_f16 v8, v24, s18 op_sel_hi:[1,0]
	v_pk_fma_f16 v10, v51, s26, v9 op_sel:[0,0,1] op_sel_hi:[1,0,0] neg_lo:[1,0,0] neg_hi:[1,0,0]
	v_pk_add_f16 v5, v5, v155
	v_pk_fma_f16 v7, v18, s10, v6 op_sel_hi:[1,0,1]
	v_pk_fma_f16 v9, v23, s16, v8 op_sel:[0,0,1] op_sel_hi:[1,0,0]
	v_pk_add_f16 v2, v10, v2
	v_pk_add_f16 v5, v7, v5
	v_alignbit_b32 v10, s0, v9, 16
	v_pk_add_f16 v5, v10, v5
	v_pk_mul_f16 v10, v28, s27 op_sel_hi:[1,0]
	v_pk_fma_f16 v11, v25, s25, v10 op_sel:[0,0,1] op_sel_hi:[1,0,0]
	v_alignbit_b32 v13, s0, v11, 16
	v_pk_add_f16 v5, v13, v5
	v_pk_mul_f16 v13, v30, s28 op_sel_hi:[1,0]
	v_pk_fma_f16 v15, v29, s8, v13 op_sel:[0,0,1] op_sel_hi:[1,0,0]
	v_pk_add_f16 v1, v16, v1
	v_alignbit_b32 v16, s0, v15, 16
	v_pk_add_f16 v5, v16, v5
	v_pk_mul_f16 v16, v34, s21 op_sel_hi:[1,0]
	v_pk_fma_f16 v17, v31, s19, v16 op_sel:[0,0,1] op_sel_hi:[1,0,0]
	v_pk_fma_f16 v3, v14, s20, v3 op_sel:[0,0,1] op_sel_hi:[1,0,0] neg_lo:[0,0,1] neg_hi:[0,0,1]
	v_alignbit_b32 v14, s0, v155, 16
	v_pk_fma_f16 v6, v18, s10, v6 op_sel_hi:[1,0,1] neg_lo:[0,0,1] neg_hi:[0,0,1]
	v_alignbit_b32 v19, s0, v17, 16
	v_pk_add_f16 v14, v3, v14
	v_alignbit_b32 v18, s0, v6, 16
	v_bfi_b32 v3, s31, v4, v3
	v_pk_add_f16 v5, v19, v5
	v_pk_mul_f16 v19, v39, s22 op_sel_hi:[1,0]
	v_pk_add_f16 v14, v18, v14
	v_pk_fma_f16 v8, v23, s16, v8 op_sel:[0,0,1] op_sel_hi:[1,0,0] neg_lo:[0,0,1] neg_hi:[0,0,1]
	v_pk_add_f16 v3, v3, v155 op_sel:[0,1] op_sel_hi:[1,0]
	v_alignbit_b32 v4, v6, v7, 16
	v_pk_fma_f16 v24, v35, s9, v19 op_sel:[0,0,1] op_sel_hi:[1,0,0]
	v_pk_add_f16 v14, v8, v14
	v_pk_fma_f16 v10, v25, s25, v10 op_sel:[0,0,1] op_sel_hi:[1,0,0] neg_lo:[0,0,1] neg_hi:[0,0,1]
	v_pk_add_f16 v3, v4, v3
	v_bfi_b32 v4, s31, v9, v8
	v_alignbit_b32 v28, s0, v24, 16
	v_pk_add_f16 v14, v10, v14
	v_pk_fma_f16 v13, v29, s8, v13 op_sel:[0,0,1] op_sel_hi:[1,0,0] neg_lo:[0,0,1] neg_hi:[0,0,1]
	v_pk_add_f16 v3, v4, v3
	v_bfi_b32 v4, s31, v11, v10
	v_pk_add_f16 v5, v28, v5
	v_pk_mul_f16 v28, v51, s17 op_sel_hi:[1,0]
	v_pk_add_f16 v14, v13, v14
	v_pk_fma_f16 v16, v31, s19, v16 op_sel:[0,0,1] op_sel_hi:[1,0,0] neg_lo:[0,0,1] neg_hi:[0,0,1]
	v_pk_add_f16 v3, v4, v3
	v_bfi_b32 v4, s31, v15, v13
	v_pk_fma_f16 v30, v38, s11, v28 op_sel:[0,0,1] op_sel_hi:[1,0,0]
	v_pk_add_f16 v14, v16, v14
	v_pk_fma_f16 v18, v35, s9, v19 op_sel:[0,0,1] op_sel_hi:[1,0,0] neg_lo:[0,0,1] neg_hi:[0,0,1]
	v_pk_add_f16 v3, v4, v3
	v_bfi_b32 v4, s31, v17, v16
	v_alignbit_b32 v32, s0, v30, 16
	v_pk_add_f16 v14, v18, v14
	v_pk_fma_f16 v19, v38, s11, v28 op_sel:[0,0,1] op_sel_hi:[1,0,0] neg_lo:[0,0,1] neg_hi:[0,0,1]
	v_pk_add_f16 v3, v4, v3
	v_bfi_b32 v4, s31, v24, v18
	v_pk_add_f16 v5, v32, v5
	v_pk_add_f16 v14, v19, v14
	;; [unrolled: 1-line block ×3, first 2 shown]
	v_bfi_b32 v4, s31, v30, v19
	v_pk_add_f16 v3, v4, v3
	v_pack_b32_f16 v4, v14, v5
	ds_write2_b32 v12, v1, v4 offset1:7
	v_alignbit_b32 v1, v2, v0, 16
	v_alignbit_b32 v0, v0, v2, 16
	s_mov_b32 s8, 0x5040100
	ds_write2_b32 v12, v0, v1 offset0:8 offset1:9
	v_perm_b32 v0, v53, v33, s8
	ds_write2_b32 v12, v3, v0 offset0:10 offset1:11
	v_perm_b32 v0, v41, v27, s8
	v_perm_b32 v1, v52, v26, s8
	ds_write2_b32 v12, v1, v0 offset0:12 offset1:13
	v_perm_b32 v0, v234, v22, s8
	;; [unrolled: 3-line block ×3, first 2 shown]
	ds_write_b32 v12, v0 offset:64
.LBB0_7:
	s_or_b64 exec, exec, s[4:5]
	s_load_dwordx4 s[8:11], s[2:3], 0x0
	s_movk_i32 s2, 0xf1
	v_mul_lo_u16_sdwa v0, v228, s2 dst_sel:DWORD dst_unused:UNUSED_PAD src0_sel:BYTE_0 src1_sel:DWORD
	v_lshrrev_b16_e32 v3, 12, v0
	v_mul_lo_u16_e32 v0, 17, v3
	v_sub_u16_e32 v25, v228, v0
	v_mov_b32_e32 v0, 10
	v_mul_u32_u24_sdwa v0, v25, v0 dst_sel:DWORD dst_unused:UNUSED_PAD src0_sel:BYTE_0 src1_sel:DWORD
	v_lshlrev_b32_e32 v0, 2, v0
	s_waitcnt lgkmcnt(0)
	s_barrier
	global_load_dwordx4 v[4:7], v0, s[14:15]
	global_load_dwordx4 v[8:11], v0, s[14:15] offset:16
	global_load_dwordx2 v[23:24], v0, s[14:15] offset:32
	v_add_lshl_u32 v47, v229, v228, 2
	ds_read2_b32 v[1:2], v47 offset1:85
	ds_read2_b32 v[12:13], v47 offset0:170 offset1:255
	v_add_u32_e32 v16, 0x600, v47
	v_add_u32_e32 v30, 0x400, v47
	;; [unrolled: 1-line block ×3, first 2 shown]
	ds_read_b32 v28, v47 offset:3400
	ds_read2_b32 v[14:15], v30 offset0:84 offset1:169
	ds_read2_b32 v[16:17], v16 offset0:126 offset1:211
	;; [unrolled: 1-line block ×3, first 2 shown]
	s_waitcnt lgkmcnt(5)
	v_lshrrev_b32_e32 v29, 16, v2
	s_waitcnt lgkmcnt(4)
	v_lshrrev_b32_e32 v31, 16, v12
	v_lshrrev_b32_e32 v32, 16, v13
	s_waitcnt lgkmcnt(2)
	v_lshrrev_b32_e32 v35, 16, v14
	;; [unrolled: 3-line block ×4, first 2 shown]
	v_lshrrev_b32_e32 v34, 16, v28
	v_lshrrev_b32_e32 v51, 16, v19
	s_movk_i32 s4, 0x3abb
	s_movk_i32 s2, 0x36a6
	s_mov_b32 s3, 0xb08e
	s_mov_b32 s5, 0xb93d
	;; [unrolled: 1-line block ×3, first 2 shown]
	v_mul_u32_u24_e32 v3, 0xbb, v3
	v_add_u32_sdwa v3, v3, v25 dst_sel:DWORD dst_unused:UNUSED_PAD src0_sel:DWORD src1_sel:BYTE_0
	s_waitcnt vmcnt(0)
	s_barrier
	v_mul_f16_sdwa v54, v29, v4 dst_sel:DWORD dst_unused:UNUSED_PAD src0_sel:DWORD src1_sel:WORD_1
	v_mul_f16_sdwa v55, v2, v4 dst_sel:DWORD dst_unused:UNUSED_PAD src0_sel:DWORD src1_sel:WORD_1
	;; [unrolled: 1-line block ×3, first 2 shown]
	v_fma_f16 v2, v2, v4, -v54
	v_mul_f16_sdwa v57, v12, v5 dst_sel:DWORD dst_unused:UNUSED_PAD src0_sel:DWORD src1_sel:WORD_1
	v_mul_f16_sdwa v58, v32, v6 dst_sel:DWORD dst_unused:UNUSED_PAD src0_sel:DWORD src1_sel:WORD_1
	v_fma_f16 v29, v29, v4, v55
	v_fma_f16 v12, v12, v5, -v56
	v_add_f16_e32 v54, v1, v2
	v_mul_f16_sdwa v59, v13, v6 dst_sel:DWORD dst_unused:UNUSED_PAD src0_sel:DWORD src1_sel:WORD_1
	v_mul_f16_sdwa v60, v35, v7 dst_sel:DWORD dst_unused:UNUSED_PAD src0_sel:DWORD src1_sel:WORD_1
	v_fma_f16 v31, v31, v5, v57
	v_fma_f16 v13, v13, v6, -v58
	v_add_f16_sdwa v55, v1, v29 dst_sel:DWORD dst_unused:UNUSED_PAD src0_sel:WORD_1 src1_sel:DWORD
	v_add_f16_e32 v54, v54, v12
	v_mul_f16_sdwa v61, v14, v7 dst_sel:DWORD dst_unused:UNUSED_PAD src0_sel:DWORD src1_sel:WORD_1
	v_mul_f16_sdwa v62, v36, v8 dst_sel:DWORD dst_unused:UNUSED_PAD src0_sel:DWORD src1_sel:WORD_1
	v_fma_f16 v32, v32, v6, v59
	v_fma_f16 v14, v14, v7, -v60
	v_add_f16_e32 v55, v55, v31
	v_add_f16_e32 v54, v54, v13
	v_mul_f16_sdwa v63, v15, v8 dst_sel:DWORD dst_unused:UNUSED_PAD src0_sel:DWORD src1_sel:WORD_1
	v_mul_f16_sdwa v64, v37, v9 dst_sel:DWORD dst_unused:UNUSED_PAD src0_sel:DWORD src1_sel:WORD_1
	v_fma_f16 v35, v35, v7, v61
	v_fma_f16 v15, v15, v8, -v62
	v_add_f16_e32 v55, v55, v32
	;; [unrolled: 6-line block ×4, first 2 shown]
	v_add_f16_e32 v54, v54, v16
	v_mul_f16_sdwa v69, v18, v11 dst_sel:DWORD dst_unused:UNUSED_PAD src0_sel:DWORD src1_sel:WORD_1
	v_mul_f16_sdwa v70, v51, v23 dst_sel:DWORD dst_unused:UNUSED_PAD src0_sel:DWORD src1_sel:WORD_1
	;; [unrolled: 1-line block ×4, first 2 shown]
	v_fma_f16 v38, v38, v10, v67
	v_fma_f16 v18, v18, v11, -v68
	v_add_f16_e32 v55, v55, v37
	v_add_f16_e32 v54, v54, v17
	v_mul_f16_sdwa v71, v19, v23 dst_sel:DWORD dst_unused:UNUSED_PAD src0_sel:DWORD src1_sel:WORD_1
	v_fma_f16 v39, v39, v11, v69
	v_fma_f16 v19, v19, v23, -v70
	v_fma_f16 v28, v28, v24, -v72
	v_fma_f16 v34, v34, v24, v73
	v_add_f16_e32 v55, v55, v38
	v_add_f16_e32 v54, v54, v18
	v_fma_f16 v51, v51, v23, v71
	v_add_f16_e32 v56, v2, v28
	v_add_f16_e32 v57, v29, v34
	v_sub_f16_e32 v2, v2, v28
	v_sub_f16_e32 v29, v29, v34
	v_add_f16_e32 v55, v55, v39
	v_add_f16_e32 v54, v54, v19
	;; [unrolled: 1-line block ×4, first 2 shown]
	v_mul_f16_e32 v54, 0xb853, v29
	v_mul_f16_e32 v58, 0xb853, v2
	;; [unrolled: 1-line block ×10, first 2 shown]
	v_add_f16_e32 v34, v55, v34
	v_fma_f16 v55, v56, s4, -v54
	v_fma_f16 v59, v57, s4, v58
	v_fma_f16 v54, v56, s4, v54
	v_fma_f16 v58, v57, s4, -v58
	v_fma_f16 v61, v56, s2, -v60
	v_fma_f16 v63, v57, s2, v62
	v_fma_f16 v60, v56, s2, v60
	v_fma_f16 v62, v57, s2, -v62
	;; [unrolled: 4-line block ×5, first 2 shown]
	v_add_f16_e32 v55, v1, v55
	v_add_f16_sdwa v59, v1, v59 dst_sel:DWORD dst_unused:UNUSED_PAD src0_sel:WORD_1 src1_sel:DWORD
	v_add_f16_e32 v54, v1, v54
	v_add_f16_sdwa v58, v1, v58 dst_sel:DWORD dst_unused:UNUSED_PAD src0_sel:WORD_1 src1_sel:DWORD
	;; [unrolled: 2-line block ×10, first 2 shown]
	v_add_f16_e32 v2, v12, v19
	v_sub_f16_e32 v12, v12, v19
	v_sub_f16_e32 v19, v31, v51
	v_add_f16_e32 v56, v31, v51
	v_mul_f16_e32 v31, 0xbb47, v19
	v_fma_f16 v51, v2, s2, -v31
	v_add_f16_e32 v51, v51, v55
	v_mul_f16_e32 v55, 0xbb47, v12
	v_fma_f16 v31, v2, s2, v31
	v_fma_f16 v57, v56, s2, v55
	v_add_f16_e32 v31, v31, v54
	v_fma_f16 v54, v56, s2, -v55
	v_mul_f16_e32 v55, 0xba0c, v19
	v_add_f16_e32 v57, v57, v59
	v_add_f16_e32 v54, v54, v58
	v_fma_f16 v58, v2, s5, -v55
	v_mul_f16_e32 v59, 0xba0c, v12
	v_fma_f16 v55, v2, s5, v55
	v_add_f16_e32 v58, v58, v61
	v_fma_f16 v61, v56, s5, v59
	v_add_f16_e32 v55, v55, v60
	v_fma_f16 v59, v56, s5, -v59
	v_mul_f16_e32 v60, 0x3482, v19
	v_add_f16_e32 v61, v61, v63
	v_add_f16_e32 v59, v59, v62
	v_fma_f16 v62, v2, s16, -v60
	v_mul_f16_e32 v63, 0x3482, v12
	v_fma_f16 v60, v2, s16, v60
	v_add_f16_e32 v62, v62, v65
	v_fma_f16 v65, v56, s16, v63
	v_add_f16_e32 v60, v60, v64
	v_fma_f16 v63, v56, s16, -v63
	v_mul_f16_e32 v64, 0x3beb, v19
	v_add_f16_e32 v65, v65, v67
	v_add_f16_e32 v63, v63, v66
	v_fma_f16 v66, v2, s3, -v64
	v_mul_f16_e32 v67, 0x3beb, v12
	v_add_f16_e32 v66, v66, v69
	v_fma_f16 v69, v56, s3, v67
	v_fma_f16 v67, v56, s3, -v67
	v_mul_f16_e32 v12, 0x3853, v12
	v_fma_f16 v64, v2, s3, v64
	v_add_f16_e32 v67, v67, v70
	v_mul_f16_e32 v19, 0x3853, v19
	v_fma_f16 v70, v56, s4, v12
	v_fma_f16 v12, v56, s4, -v12
	v_add_f16_e32 v64, v64, v68
	v_fma_f16 v68, v2, s4, -v19
	v_fma_f16 v2, v2, s4, v19
	v_add_f16_e32 v1, v12, v1
	v_add_f16_e32 v12, v13, v18
	v_sub_f16_e32 v13, v13, v18
	v_sub_f16_e32 v18, v32, v39
	v_add_f16_e32 v2, v2, v29
	v_mul_f16_e32 v29, 0xbbeb, v18
	v_add_f16_e32 v19, v32, v39
	v_fma_f16 v32, v12, s3, -v29
	v_mul_f16_e32 v39, 0xbbeb, v13
	v_fma_f16 v29, v12, s3, v29
	v_add_f16_e32 v32, v32, v51
	v_fma_f16 v51, v19, s3, v39
	v_add_f16_e32 v29, v29, v31
	v_fma_f16 v31, v19, s3, -v39
	v_mul_f16_e32 v39, 0x3482, v18
	v_add_f16_e32 v31, v31, v54
	v_fma_f16 v54, v12, s16, -v39
	v_mul_f16_e32 v56, 0x3482, v13
	v_fma_f16 v39, v12, s16, v39
	v_add_f16_e32 v51, v51, v57
	v_fma_f16 v57, v19, s16, v56
	v_add_f16_e32 v39, v39, v55
	v_fma_f16 v55, v19, s16, -v56
	v_mul_f16_e32 v56, 0x3b47, v18
	v_add_f16_e32 v54, v54, v58
	v_fma_f16 v58, v12, s2, -v56
	v_fma_f16 v56, v12, s2, v56
	v_add_f16_e32 v55, v55, v59
	v_mul_f16_e32 v59, 0x3b47, v13
	v_add_f16_e32 v56, v56, v60
	v_mul_f16_e32 v60, 0xb853, v18
	v_add_f16_e32 v57, v57, v61
	v_add_f16_e32 v58, v58, v62
	v_fma_f16 v61, v19, s2, v59
	v_fma_f16 v59, v19, s2, -v59
	v_fma_f16 v62, v12, s4, -v60
	v_fma_f16 v60, v12, s4, v60
	v_mul_f16_e32 v18, 0xba0c, v18
	v_add_f16_e32 v59, v59, v63
	v_mul_f16_e32 v63, 0xb853, v13
	v_add_f16_e32 v60, v60, v64
	v_fma_f16 v64, v12, s5, -v18
	v_mul_f16_e32 v13, 0xba0c, v13
	v_fma_f16 v12, v12, s5, v18
	v_add_f16_e32 v2, v12, v2
	v_fma_f16 v12, v19, s5, -v13
	v_add_f16_e32 v1, v12, v1
	v_add_f16_e32 v12, v14, v17
	v_sub_f16_e32 v14, v14, v17
	v_sub_f16_e32 v17, v35, v38
	v_mul_f16_e32 v18, 0xba0c, v17
	v_add_f16_e32 v61, v61, v65
	v_add_f16_e32 v62, v62, v66
	v_fma_f16 v65, v19, s4, v63
	v_fma_f16 v63, v19, s4, -v63
	v_fma_f16 v66, v19, s5, v13
	v_fma_f16 v19, v12, s5, -v18
	v_add_f16_e32 v13, v35, v38
	v_add_f16_e32 v19, v19, v32
	v_mul_f16_e32 v32, 0xba0c, v14
	v_fma_f16 v18, v12, s5, v18
	v_add_f16_e32 v18, v18, v29
	v_fma_f16 v29, v13, s5, -v32
	v_add_f16_e32 v29, v29, v31
	v_mul_f16_e32 v31, 0x3beb, v17
	v_fma_f16 v35, v13, s5, v32
	v_fma_f16 v32, v12, s3, -v31
	v_add_f16_e32 v38, v32, v54
	v_mul_f16_e32 v32, 0x3beb, v14
	v_add_f16_e32 v35, v35, v51
	v_fma_f16 v51, v13, s3, v32
	v_fma_f16 v31, v12, s3, v31
	v_fma_f16 v32, v13, s3, -v32
	v_add_f16_e32 v31, v31, v39
	v_add_f16_e32 v39, v32, v55
	v_mul_f16_e32 v32, 0xb853, v17
	v_fma_f16 v54, v12, s4, -v32
	v_mul_f16_e32 v55, 0xb853, v14
	v_fma_f16 v32, v12, s4, v32
	v_add_f16_e32 v56, v32, v56
	v_fma_f16 v32, v13, s4, -v55
	v_add_f16_e32 v51, v51, v57
	v_fma_f16 v57, v13, s4, v55
	v_add_f16_e32 v55, v32, v59
	v_mul_f16_e32 v32, 0xb482, v17
	v_add_f16_e32 v54, v54, v58
	v_add_f16_e32 v58, v57, v61
	v_fma_f16 v57, v12, s16, -v32
	v_add_f16_e32 v59, v57, v62
	v_mul_f16_e32 v57, 0xb482, v14
	v_fma_f16 v32, v12, s16, v32
	v_add_f16_e32 v63, v63, v67
	v_add_f16_e32 v60, v32, v60
	v_fma_f16 v32, v13, s16, -v57
	v_mul_f16_e32 v17, 0x3b47, v17
	v_add_f16_e32 v68, v68, v72
	v_add_f16_e32 v62, v32, v63
	v_fma_f16 v32, v12, s2, -v17
	v_mul_f16_e32 v14, 0x3b47, v14
	v_fma_f16 v12, v12, s2, v17
	v_add_f16_e32 v64, v64, v68
	v_add_f16_e32 v2, v12, v2
	v_fma_f16 v12, v13, s2, -v14
	v_add_f16_e32 v63, v32, v64
	v_fma_f16 v32, v13, s2, v14
	v_add_f16_e32 v1, v12, v1
	v_add_f16_e32 v12, v15, v16
	v_sub_f16_e32 v14, v15, v16
	v_sub_f16_e32 v15, v36, v37
	v_mul_f16_e32 v16, 0xb482, v15
	v_add_f16_e32 v70, v70, v73
	v_fma_f16 v17, v12, s16, -v16
	v_add_f16_e32 v66, v66, v70
	v_fma_f16 v61, v13, s16, v57
	v_add_f16_e32 v13, v36, v37
	v_add_f16_e32 v17, v17, v19
	v_mul_f16_e32 v19, 0xb482, v14
	v_add_f16_e32 v64, v32, v66
	v_fma_f16 v32, v13, s16, v19
	v_fma_f16 v16, v12, s16, v16
	v_add_f16_e32 v35, v32, v35
	v_add_f16_e32 v32, v16, v18
	v_fma_f16 v16, v13, s16, -v19
	v_add_f16_e32 v57, v16, v29
	v_mul_f16_e32 v16, 0x3853, v15
	v_mul_f16_e32 v19, 0x3853, v14
	v_fma_f16 v18, v12, s4, -v16
	v_fma_f16 v29, v13, s4, v19
	v_fma_f16 v16, v12, s4, v16
	v_fma_f16 v19, v13, s4, -v19
	v_add_f16_e32 v16, v16, v31
	v_add_f16_e32 v19, v19, v39
	v_mul_f16_e32 v31, 0xba0c, v15
	v_mul_f16_e32 v39, 0x3b47, v15
	v_add_f16_e32 v29, v29, v51
	v_fma_f16 v36, v12, s5, -v31
	v_mul_f16_e32 v37, 0xba0c, v14
	v_fma_f16 v51, v12, s2, -v39
	v_add_f16_e32 v18, v18, v38
	v_add_f16_e32 v36, v36, v54
	v_fma_f16 v38, v13, s5, v37
	v_fma_f16 v37, v13, s5, -v37
	v_add_f16_e32 v54, v51, v59
	v_mul_f16_e32 v51, 0x3b47, v14
	v_fma_f16 v31, v12, s5, v31
	v_add_f16_e32 v37, v37, v55
	v_fma_f16 v55, v13, s2, v51
	v_fma_f16 v51, v13, s2, -v51
	v_mul_f16_e32 v15, 0xbbeb, v15
	v_add_f16_e32 v31, v31, v56
	v_fma_f16 v39, v12, s2, v39
	v_add_f16_e32 v56, v51, v62
	v_fma_f16 v51, v12, s3, -v15
	v_mul_f16_e32 v14, 0xbbeb, v14
	v_fma_f16 v12, v12, s3, v15
	v_add_f16_e32 v2, v12, v2
	v_fma_f16 v12, v13, s3, -v14
	v_add_f16_e32 v69, v69, v71
	v_add_f16_e32 v38, v38, v58
	;; [unrolled: 1-line block ×4, first 2 shown]
	v_fma_f16 v51, v13, s3, v14
	v_add_f16_e32 v1, v12, v1
	v_add_f16_e32 v65, v65, v69
	;; [unrolled: 1-line block ×3, first 2 shown]
	v_add_lshl_u32 v51, v229, v3, 2
	v_pack_b32_f16 v1, v2, v1
	v_pack_b32_f16 v2, v39, v56
	v_add_f16_e32 v61, v61, v65
	v_pack_b32_f16 v3, v28, v34
	v_pack_b32_f16 v12, v17, v35
	ds_write2_b32 v51, v1, v2 offset0:102 offset1:119
	v_pack_b32_f16 v1, v31, v37
	v_pack_b32_f16 v2, v16, v19
	v_add_f16_e32 v55, v55, v61
	ds_write2_b32 v51, v3, v12 offset1:17
	v_pack_b32_f16 v3, v18, v29
	v_pack_b32_f16 v12, v36, v38
	ds_write2_b32 v51, v1, v2 offset0:136 offset1:153
	v_pack_b32_f16 v1, v32, v57
	ds_write2_b32 v51, v3, v12 offset0:34 offset1:51
	v_pack_b32_f16 v3, v54, v55
	v_pack_b32_f16 v12, v58, v59
	ds_write_b32 v51, v1 offset:680
	v_add_u32_e32 v1, 0x200, v47
	ds_write2_b32 v51, v3, v12 offset0:68 offset1:85
	s_waitcnt lgkmcnt(0)
	s_barrier
	ds_read2_b32 v[34:35], v47 offset1:85
	ds_read2_b32 v[28:29], v1 offset0:59 offset1:144
	ds_read2_b32 v[30:31], v30 offset0:118 offset1:203
	;; [unrolled: 1-line block ×3, first 2 shown]
	v_add_u32_e32 v2, 0xa00, v47
	ds_read2_b32 v[38:39], v2 offset0:108 offset1:193
	v_cmp_gt_u16_e64 s[2:3], 17, v228
	s_and_saveexec_b64 s[4:5], s[2:3]
	s_cbranch_execz .LBB0_9
; %bb.8:
	ds_read2_b32 v[32:33], v1 offset0:42 offset1:229
	ds_read2_b32 v[26:27], v0 offset0:32 offset1:219
	ds_read_b32 v21, v47 offset:3672
	s_waitcnt lgkmcnt(2)
	v_lshrrev_b32_e32 v57, 16, v32
	v_lshrrev_b32_e32 v53, 16, v33
	s_waitcnt lgkmcnt(1)
	v_lshrrev_b32_e32 v52, 16, v26
	v_lshrrev_b32_e32 v41, 16, v27
	s_waitcnt lgkmcnt(0)
	v_lshrrev_b32_e32 v40, 16, v21
.LBB0_9:
	s_or_b64 exec, exec, s[4:5]
	v_lshlrev_b32_e32 v0, 4, v228
	global_load_dwordx4 v[12:15], v0, s[14:15] offset:680
	v_add_u32_e32 v0, 0x550, v0
	global_load_dwordx4 v[16:19], v0, s[14:15] offset:680
	v_add_co_u32_e32 v0, vcc, 0xaa, v228
	s_movk_i32 s16, 0xffef
	v_addc_co_u32_e64 v1, s[4:5], 0, 0, vcc
	v_add_co_u32_e32 v3, vcc, s16, v228
	v_addc_co_u32_e64 v25, s[4:5], 0, -1, vcc
	v_cndmask_b32_e64 v1, v25, v1, s[2:3]
	v_cndmask_b32_e64 v0, v3, v0, s[2:3]
	v_lshlrev_b64 v[0:1], 4, v[0:1]
	v_mov_b32_e32 v2, s15
	v_add_co_u32_e32 v0, vcc, s14, v0
	v_addc_co_u32_e32 v1, vcc, v2, v1, vcc
	global_load_dwordx4 v[0:3], v[0:1], off offset:680
	s_waitcnt lgkmcnt(3)
	v_lshrrev_b32_e32 v25, 16, v28
	s_waitcnt lgkmcnt(2)
	v_lshrrev_b32_e32 v54, 16, v30
	s_waitcnt lgkmcnt(1)
	v_lshrrev_b32_e32 v55, 16, v36
	s_waitcnt lgkmcnt(0)
	v_lshrrev_b32_e32 v56, 16, v38
	v_lshrrev_b32_e32 v59, 16, v29
	v_lshrrev_b32_e32 v61, 16, v31
	;; [unrolled: 1-line block ×4, first 2 shown]
	s_movk_i32 s4, 0x3b9c
	s_movk_i32 s5, 0x38b4
	;; [unrolled: 1-line block ×3, first 2 shown]
	s_mov_b32 s15, 0xbb9c
	s_mov_b32 s16, 0xb8b4
	v_lshrrev_b32_e32 v58, 16, v34
	v_lshrrev_b32_e32 v60, 16, v35
	v_add_u32_e32 v171, v245, v43
	s_waitcnt vmcnt(2)
	v_mul_f16_sdwa v64, v25, v12 dst_sel:DWORD dst_unused:UNUSED_PAD src0_sel:DWORD src1_sel:WORD_1
	v_mul_f16_sdwa v66, v54, v13 dst_sel:DWORD dst_unused:UNUSED_PAD src0_sel:DWORD src1_sel:WORD_1
	v_mul_f16_sdwa v68, v55, v14 dst_sel:DWORD dst_unused:UNUSED_PAD src0_sel:DWORD src1_sel:WORD_1
	v_mul_f16_sdwa v65, v28, v12 dst_sel:DWORD dst_unused:UNUSED_PAD src0_sel:DWORD src1_sel:WORD_1
	v_mul_f16_sdwa v69, v36, v14 dst_sel:DWORD dst_unused:UNUSED_PAD src0_sel:DWORD src1_sel:WORD_1
	v_mul_f16_sdwa v71, v38, v15 dst_sel:DWORD dst_unused:UNUSED_PAD src0_sel:DWORD src1_sel:WORD_1
	v_fma_f16 v64, v28, v12, -v64
	v_fma_f16 v66, v30, v13, -v66
	;; [unrolled: 1-line block ×3, first 2 shown]
	s_waitcnt vmcnt(1)
	v_mul_f16_sdwa v28, v29, v16 dst_sel:DWORD dst_unused:UNUSED_PAD src0_sel:DWORD src1_sel:WORD_1
	v_mul_f16_sdwa v67, v30, v13 dst_sel:DWORD dst_unused:UNUSED_PAD src0_sel:DWORD src1_sel:WORD_1
	;; [unrolled: 1-line block ×3, first 2 shown]
	v_fma_f16 v65, v25, v12, v65
	v_fma_f16 v68, v55, v14, v69
	;; [unrolled: 1-line block ×3, first 2 shown]
	v_mul_f16_sdwa v25, v59, v16 dst_sel:DWORD dst_unused:UNUSED_PAD src0_sel:DWORD src1_sel:WORD_1
	v_mul_f16_sdwa v30, v61, v17 dst_sel:DWORD dst_unused:UNUSED_PAD src0_sel:DWORD src1_sel:WORD_1
	;; [unrolled: 1-line block ×3, first 2 shown]
	v_fma_f16 v73, v59, v16, v28
	v_add_f16_e32 v28, v66, v36
	v_fma_f16 v67, v54, v13, v67
	v_fma_f16 v38, v38, v15, -v70
	v_mul_f16_sdwa v54, v31, v17 dst_sel:DWORD dst_unused:UNUSED_PAD src0_sel:DWORD src1_sel:WORD_1
	v_mul_f16_sdwa v56, v37, v18 dst_sel:DWORD dst_unused:UNUSED_PAD src0_sel:DWORD src1_sel:WORD_1
	;; [unrolled: 1-line block ×4, first 2 shown]
	v_fma_f16 v72, v29, v16, -v25
	v_fma_f16 v74, v31, v17, -v30
	;; [unrolled: 1-line block ×3, first 2 shown]
	v_sub_f16_e32 v29, v65, v69
	v_fma_f16 v28, v28, -0.5, v34
	s_waitcnt vmcnt(0)
	v_mul_f16_sdwa v30, v53, v0 dst_sel:DWORD dst_unused:UNUSED_PAD src0_sel:DWORD src1_sel:WORD_1
	v_mul_f16_sdwa v31, v33, v0 dst_sel:DWORD dst_unused:UNUSED_PAD src0_sel:DWORD src1_sel:WORD_1
	;; [unrolled: 1-line block ×4, first 2 shown]
	v_fma_f16 v61, v61, v17, v54
	v_fma_f16 v39, v39, v19, -v70
	v_fma_f16 v63, v63, v19, v71
	v_mul_f16_sdwa v54, v26, v1 dst_sel:DWORD dst_unused:UNUSED_PAD src0_sel:DWORD src1_sel:WORD_1
	v_mul_f16_sdwa v70, v21, v3 dst_sel:DWORD dst_unused:UNUSED_PAD src0_sel:DWORD src1_sel:WORD_1
	v_fma_f16 v33, v33, v0, -v30
	v_fma_f16 v53, v53, v0, v31
	v_fma_f16 v71, v26, v1, -v37
	v_fma_f16 v77, v21, v3, -v59
	v_fma_f16 v21, v29, s4, v28
	v_sub_f16_e32 v31, v67, v68
	v_sub_f16_e32 v26, v64, v66
	;; [unrolled: 1-line block ×3, first 2 shown]
	v_fma_f16 v21, v31, s5, v21
	v_add_f16_e32 v30, v26, v30
	v_fma_f16 v26, v30, s14, v21
	v_fma_f16 v21, v29, s15, v28
	;; [unrolled: 1-line block ×4, first 2 shown]
	v_add_f16_e32 v21, v64, v38
	v_fma_f16 v21, v21, -0.5, v34
	v_add_f16_e32 v25, v34, v64
	v_fma_f16 v30, v31, s15, v21
	v_sub_f16_e32 v34, v66, v64
	v_sub_f16_e32 v37, v36, v38
	v_fma_f16 v21, v31, s4, v21
	v_add_f16_e32 v34, v34, v37
	v_fma_f16 v21, v29, s16, v21
	v_fma_f16 v31, v34, s14, v21
	v_add_f16_e32 v21, v58, v65
	v_add_f16_e32 v21, v21, v67
	;; [unrolled: 1-line block ×4, first 2 shown]
	v_fma_f16 v52, v52, v1, v54
	v_add_f16_e32 v54, v21, v69
	v_add_f16_e32 v21, v67, v68
	;; [unrolled: 1-line block ×3, first 2 shown]
	v_fma_f16 v30, v29, s5, v30
	v_fma_f16 v21, v21, -0.5, v58
	v_sub_f16_e32 v29, v64, v38
	v_add_f16_e32 v25, v25, v38
	v_fma_f16 v30, v34, s14, v30
	v_fma_f16 v34, v29, s15, v21
	v_sub_f16_e32 v36, v66, v36
	v_sub_f16_e32 v37, v65, v67
	;; [unrolled: 1-line block ×3, first 2 shown]
	v_fma_f16 v21, v29, s4, v21
	v_fma_f16 v62, v62, v18, v56
	v_mul_f16_sdwa v56, v27, v2 dst_sel:DWORD dst_unused:UNUSED_PAD src0_sel:DWORD src1_sel:WORD_1
	v_add_f16_e32 v37, v37, v38
	v_fma_f16 v21, v36, s5, v21
	v_fma_f16 v76, v41, v2, v56
	;; [unrolled: 1-line block ×3, first 2 shown]
	v_add_f16_e32 v21, v65, v69
	v_mul_f16_sdwa v55, v41, v2 dst_sel:DWORD dst_unused:UNUSED_PAD src0_sel:DWORD src1_sel:WORD_1
	v_fma_f16 v34, v36, s16, v34
	v_fma_f16 v21, v21, -0.5, v58
	v_fma_f16 v27, v27, v2, -v55
	v_fma_f16 v55, v37, s14, v34
	v_fma_f16 v34, v36, s4, v21
	v_sub_f16_e32 v37, v67, v65
	v_sub_f16_e32 v38, v68, v69
	v_fma_f16 v21, v36, s15, v21
	v_add_f16_e32 v37, v37, v38
	v_fma_f16 v21, v29, s5, v21
	v_fma_f16 v59, v37, s14, v21
	v_add_f16_e32 v21, v35, v72
	v_add_f16_e32 v21, v21, v74
	;; [unrolled: 1-line block ×3, first 2 shown]
	v_fma_f16 v34, v29, s16, v34
	v_add_f16_e32 v29, v21, v39
	v_add_f16_e32 v21, v74, v75
	v_fma_f16 v21, v21, -0.5, v35
	v_sub_f16_e32 v36, v73, v63
	v_fma_f16 v78, v40, v3, v70
	v_fma_f16 v58, v37, s14, v34
	;; [unrolled: 1-line block ×3, first 2 shown]
	v_sub_f16_e32 v38, v61, v62
	v_sub_f16_e32 v37, v72, v74
	;; [unrolled: 1-line block ×3, first 2 shown]
	v_fma_f16 v21, v36, s15, v21
	v_fma_f16 v34, v38, s5, v34
	v_add_f16_e32 v37, v37, v40
	v_fma_f16 v21, v38, s16, v21
	v_fma_f16 v34, v37, s14, v34
	;; [unrolled: 1-line block ×3, first 2 shown]
	v_add_f16_e32 v21, v72, v39
	v_fma_f16 v21, v21, -0.5, v35
	v_fma_f16 v35, v38, s15, v21
	v_sub_f16_e32 v40, v74, v72
	v_sub_f16_e32 v41, v75, v39
	v_fma_f16 v21, v38, s4, v21
	v_add_f16_e32 v40, v40, v41
	v_fma_f16 v21, v36, s16, v21
	v_fma_f16 v35, v36, s5, v35
	;; [unrolled: 1-line block ×3, first 2 shown]
	v_add_f16_e32 v21, v60, v73
	v_add_f16_e32 v21, v21, v61
	;; [unrolled: 1-line block ×5, first 2 shown]
	v_fma_f16 v21, v21, -0.5, v60
	v_sub_f16_e32 v38, v72, v39
	v_fma_f16 v35, v40, s14, v35
	v_fma_f16 v39, v38, s15, v21
	v_sub_f16_e32 v40, v74, v75
	v_sub_f16_e32 v41, v73, v61
	;; [unrolled: 1-line block ×3, first 2 shown]
	v_fma_f16 v21, v38, s4, v21
	v_add_f16_e32 v41, v41, v65
	v_fma_f16 v21, v40, s5, v21
	v_fma_f16 v66, v41, s14, v21
	v_add_f16_e32 v21, v73, v63
	v_fma_f16 v39, v40, s16, v39
	v_fma_f16 v21, v21, -0.5, v60
	v_fma_f16 v65, v41, s14, v39
	v_fma_f16 v39, v40, s4, v21
	v_sub_f16_e32 v41, v61, v73
	v_sub_f16_e32 v60, v62, v63
	v_fma_f16 v21, v40, s15, v21
	v_add_f16_e32 v41, v41, v60
	v_fma_f16 v21, v38, s5, v21
	v_fma_f16 v68, v41, s14, v21
	v_add_f16_e32 v21, v32, v33
	v_add_f16_e32 v21, v21, v71
	;; [unrolled: 1-line block ×3, first 2 shown]
	v_fma_f16 v39, v38, s16, v39
	v_add_f16_e32 v38, v21, v77
	v_add_f16_e32 v21, v71, v27
	v_fma_f16 v67, v41, s14, v39
	v_fma_f16 v21, v21, -0.5, v32
	v_sub_f16_e32 v41, v53, v78
	v_fma_f16 v39, v41, s4, v21
	v_sub_f16_e32 v60, v52, v76
	v_sub_f16_e32 v40, v33, v71
	;; [unrolled: 1-line block ×3, first 2 shown]
	v_fma_f16 v21, v41, s15, v21
	v_fma_f16 v39, v60, s5, v39
	v_add_f16_e32 v40, v40, v61
	v_fma_f16 v21, v60, s16, v21
	v_fma_f16 v39, v40, s14, v39
	;; [unrolled: 1-line block ×3, first 2 shown]
	v_add_f16_e32 v40, v33, v77
	v_fma_f16 v32, v40, -0.5, v32
	v_fma_f16 v40, v60, s15, v32
	v_sub_f16_e32 v61, v71, v33
	v_sub_f16_e32 v62, v27, v77
	v_fma_f16 v32, v60, s4, v32
	v_add_f16_e32 v61, v61, v62
	v_fma_f16 v32, v41, s16, v32
	v_fma_f16 v40, v41, s5, v40
	;; [unrolled: 1-line block ×3, first 2 shown]
	v_add_f16_e32 v32, v57, v53
	v_add_f16_e32 v32, v32, v52
	;; [unrolled: 1-line block ×5, first 2 shown]
	v_fma_f16 v32, v32, -0.5, v57
	v_sub_f16_e32 v33, v33, v77
	v_fma_f16 v40, v61, s14, v40
	v_fma_f16 v60, v33, s15, v32
	v_sub_f16_e32 v27, v71, v27
	v_sub_f16_e32 v61, v53, v52
	;; [unrolled: 1-line block ×3, first 2 shown]
	v_fma_f16 v32, v33, s4, v32
	v_add_f16_e32 v61, v61, v62
	v_fma_f16 v32, v27, s5, v32
	v_fma_f16 v71, v61, s14, v32
	v_add_f16_e32 v32, v53, v78
	v_fma_f16 v32, v32, -0.5, v57
	v_fma_f16 v60, v27, s16, v60
	v_fma_f16 v57, v27, s4, v32
	v_sub_f16_e32 v52, v52, v53
	v_sub_f16_e32 v53, v76, v78
	v_fma_f16 v27, v27, s15, v32
	v_fma_f16 v57, v33, s16, v57
	v_add_f16_e32 v52, v52, v53
	v_fma_f16 v27, v33, s5, v27
	v_fma_f16 v72, v52, s14, v57
	;; [unrolled: 1-line block ×3, first 2 shown]
	v_lshl_add_u32 v52, v228, 2, v43
	v_pack_b32_f16 v32, v26, v55
	v_pack_b32_f16 v33, v30, v58
	v_add_u32_e32 v53, 0x200, v52
	ds_write2_b32 v53, v32, v33 offset0:59 offset1:246
	v_pack_b32_f16 v32, v31, v59
	v_pack_b32_f16 v33, v28, v56
	v_add_u32_e32 v53, 0x800, v52
	v_pack_b32_f16 v27, v25, v54
	ds_write2_b32 v53, v32, v33 offset0:49 offset1:236
	v_pack_b32_f16 v32, v29, v64
	ds_write2_b32 v52, v27, v32 offset1:85
	v_pack_b32_f16 v27, v34, v65
	v_pack_b32_f16 v32, v35, v67
	v_add_u32_e32 v33, 0x400, v171
	v_fma_f16 v70, v61, s14, v60
	ds_write2_b32 v33, v27, v32 offset0:16 offset1:203
	v_pack_b32_f16 v27, v36, v68
	v_pack_b32_f16 v32, v37, v66
	v_add_u32_e32 v33, 0xa00, v171
	ds_write2_b32 v33, v27, v32 offset0:6 offset1:193
	s_and_saveexec_b64 s[4:5], s[2:3]
	s_cbranch_execz .LBB0_11
; %bb.10:
	s_mov_b32 s14, 0x5040100
	v_perm_b32 v27, v69, v38, s14
	v_perm_b32 v32, v70, v39, s14
	v_add_u32_e32 v33, 0x200, v52
	ds_write2_b32 v33, v27, v32 offset0:42 offset1:229
	v_perm_b32 v27, v72, v40, s14
	v_perm_b32 v32, v73, v41, s14
	v_add_u32_e32 v33, 0x800, v52
	ds_write2_b32 v33, v27, v32 offset0:32 offset1:219
	v_perm_b32 v27, v71, v21, s14
	ds_write_b32 v52, v27 offset:3672
.LBB0_11:
	s_or_b64 exec, exec, s[4:5]
	s_waitcnt lgkmcnt(0)
	s_barrier
	s_and_saveexec_b64 s[4:5], s[0:1]
	s_cbranch_execz .LBB0_13
; %bb.12:
	global_load_dword v27, v245, s[6:7] offset:3740
	s_add_u32 s14, s6, 0xe9c
	s_addc_u32 s15, s7, 0
	global_load_dword v57, v245, s[14:15] offset:220
	global_load_dword v78, v245, s[14:15] offset:440
	;; [unrolled: 1-line block ×9, first 2 shown]
	ds_read2_b32 v[32:33], v52 offset1:55
	ds_read2_b32 v[60:61], v52 offset0:110 offset1:165
	global_load_dword v86, v245, s[14:15] offset:2200
	v_add_u32_e32 v87, 0x200, v52
	v_add_u32_e32 v88, 0x400, v52
	ds_read2_b32 v[62:63], v87 offset0:92 offset1:147
	ds_read2_b32 v[74:75], v88 offset0:74 offset1:129
	;; [unrolled: 1-line block ×3, first 2 shown]
	global_load_dword v89, v245, s[14:15] offset:2420
	global_load_dword v90, v245, s[14:15] offset:2640
	;; [unrolled: 1-line block ×6, first 2 shown]
	s_waitcnt lgkmcnt(4)
	v_lshrrev_b32_e32 v95, 16, v32
	v_lshrrev_b32_e32 v96, 16, v33
	s_waitcnt lgkmcnt(3)
	v_lshrrev_b32_e32 v97, 16, v60
	v_lshrrev_b32_e32 v98, 16, v61
	;; [unrolled: 3-line block ×5, first 2 shown]
	s_waitcnt vmcnt(13)
	v_mul_f16_sdwa v107, v98, v79 dst_sel:DWORD dst_unused:UNUSED_PAD src0_sel:DWORD src1_sel:WORD_1
	v_mul_f16_sdwa v108, v61, v79 dst_sel:DWORD dst_unused:UNUSED_PAD src0_sel:DWORD src1_sel:WORD_1
	s_waitcnt vmcnt(12)
	v_mul_f16_sdwa v109, v99, v80 dst_sel:DWORD dst_unused:UNUSED_PAD src0_sel:DWORD src1_sel:WORD_1
	v_mul_f16_sdwa v105, v95, v27 dst_sel:DWORD dst_unused:UNUSED_PAD src0_sel:DWORD src1_sel:WORD_1
	;; [unrolled: 1-line block ×3, first 2 shown]
	v_fma_f16 v32, v32, v27, -v105
	v_fma_f16 v27, v95, v27, v106
	v_pack_b32_f16 v27, v32, v27
	v_mul_f16_sdwa v32, v96, v57 dst_sel:DWORD dst_unused:UNUSED_PAD src0_sel:DWORD src1_sel:WORD_1
	v_mul_f16_sdwa v95, v33, v57 dst_sel:DWORD dst_unused:UNUSED_PAD src0_sel:DWORD src1_sel:WORD_1
	;; [unrolled: 1-line block ×5, first 2 shown]
	s_waitcnt vmcnt(11)
	v_mul_f16_sdwa v111, v100, v81 dst_sel:DWORD dst_unused:UNUSED_PAD src0_sel:DWORD src1_sel:WORD_1
	v_mul_f16_sdwa v112, v63, v81 dst_sel:DWORD dst_unused:UNUSED_PAD src0_sel:DWORD src1_sel:WORD_1
	s_waitcnt vmcnt(10)
	v_mul_f16_sdwa v113, v101, v82 dst_sel:DWORD dst_unused:UNUSED_PAD src0_sel:DWORD src1_sel:WORD_1
	v_mul_f16_sdwa v114, v74, v82 dst_sel:DWORD dst_unused:UNUSED_PAD src0_sel:DWORD src1_sel:WORD_1
	;; [unrolled: 3-line block ×3, first 2 shown]
	v_fma_f16 v32, v33, v57, -v32
	v_fma_f16 v33, v96, v57, v95
	v_fma_f16 v57, v60, v78, -v105
	v_fma_f16 v60, v97, v78, v106
	;; [unrolled: 2-line block ×7, first 2 shown]
	v_pack_b32_f16 v32, v32, v33
	v_pack_b32_f16 v33, v57, v60
	;; [unrolled: 1-line block ×7, first 2 shown]
	ds_write2_b32 v52, v27, v32 offset1:55
	ds_write2_b32 v52, v33, v57 offset0:110 offset1:165
	ds_write2_b32 v87, v60, v61 offset0:92 offset1:147
	;; [unrolled: 1-line block ×3, first 2 shown]
	v_add_u32_e32 v57, 0x800, v52
	ds_read2_b32 v[32:33], v57 offset0:38 offset1:93
	s_waitcnt vmcnt(8)
	v_mul_f16_sdwa v117, v103, v84 dst_sel:DWORD dst_unused:UNUSED_PAD src0_sel:DWORD src1_sel:WORD_1
	v_mul_f16_sdwa v118, v76, v84 dst_sel:DWORD dst_unused:UNUSED_PAD src0_sel:DWORD src1_sel:WORD_1
	s_waitcnt vmcnt(7)
	v_mul_f16_sdwa v119, v104, v85 dst_sel:DWORD dst_unused:UNUSED_PAD src0_sel:DWORD src1_sel:WORD_1
	v_mul_f16_sdwa v60, v77, v85 dst_sel:DWORD dst_unused:UNUSED_PAD src0_sel:DWORD src1_sel:WORD_1
	v_fma_f16 v76, v76, v84, -v117
	v_fma_f16 v83, v103, v84, v118
	v_fma_f16 v27, v77, v85, -v119
	v_fma_f16 v60, v104, v85, v60
	v_pack_b32_f16 v74, v76, v83
	v_pack_b32_f16 v27, v27, v60
	ds_write2_b32 v88, v74, v27 offset0:184 offset1:239
	s_waitcnt lgkmcnt(1)
	v_lshrrev_b32_e32 v27, 16, v32
	s_waitcnt vmcnt(6)
	v_mul_f16_sdwa v60, v27, v86 dst_sel:DWORD dst_unused:UNUSED_PAD src0_sel:DWORD src1_sel:WORD_1
	v_fma_f16 v60, v32, v86, -v60
	v_mul_f16_sdwa v32, v32, v86 dst_sel:DWORD dst_unused:UNUSED_PAD src0_sel:DWORD src1_sel:WORD_1
	v_fma_f16 v27, v27, v86, v32
	v_lshrrev_b32_e32 v32, 16, v33
	v_pack_b32_f16 v27, v60, v27
	s_waitcnt vmcnt(5)
	v_mul_f16_sdwa v60, v32, v89 dst_sel:DWORD dst_unused:UNUSED_PAD src0_sel:DWORD src1_sel:WORD_1
	v_fma_f16 v62, v33, v89, -v60
	ds_read2_b32 v[60:61], v57 offset0:148 offset1:203
	v_mul_f16_sdwa v33, v33, v89 dst_sel:DWORD dst_unused:UNUSED_PAD src0_sel:DWORD src1_sel:WORD_1
	v_fma_f16 v32, v32, v89, v33
	v_pack_b32_f16 v32, v62, v32
	ds_write2_b32 v57, v27, v32 offset0:38 offset1:93
	s_waitcnt lgkmcnt(1)
	v_lshrrev_b32_e32 v27, 16, v60
	s_waitcnt vmcnt(4)
	v_mul_f16_sdwa v32, v27, v90 dst_sel:DWORD dst_unused:UNUSED_PAD src0_sel:DWORD src1_sel:WORD_1
	v_mul_f16_sdwa v33, v60, v90 dst_sel:DWORD dst_unused:UNUSED_PAD src0_sel:DWORD src1_sel:WORD_1
	v_fma_f16 v32, v60, v90, -v32
	v_fma_f16 v27, v27, v90, v33
	v_lshrrev_b32_e32 v60, 16, v61
	v_pack_b32_f16 v27, v32, v27
	s_waitcnt vmcnt(3)
	v_mul_f16_sdwa v32, v60, v91 dst_sel:DWORD dst_unused:UNUSED_PAD src0_sel:DWORD src1_sel:WORD_1
	v_add_u32_e32 v63, 0xc00, v52
	v_fma_f16 v62, v61, v91, -v32
	ds_read2_b32 v[32:33], v63 offset0:2 offset1:57
	v_mul_f16_sdwa v61, v61, v91 dst_sel:DWORD dst_unused:UNUSED_PAD src0_sel:DWORD src1_sel:WORD_1
	v_fma_f16 v60, v60, v91, v61
	v_pack_b32_f16 v60, v62, v60
	ds_write2_b32 v57, v27, v60 offset0:148 offset1:203
	s_waitcnt lgkmcnt(1)
	v_lshrrev_b32_e32 v27, 16, v32
	s_waitcnt vmcnt(2)
	v_mul_f16_sdwa v57, v27, v92 dst_sel:DWORD dst_unused:UNUSED_PAD src0_sel:DWORD src1_sel:WORD_1
	v_fma_f16 v57, v32, v92, -v57
	v_mul_f16_sdwa v32, v32, v92 dst_sel:DWORD dst_unused:UNUSED_PAD src0_sel:DWORD src1_sel:WORD_1
	v_fma_f16 v27, v27, v92, v32
	v_lshrrev_b32_e32 v32, 16, v33
	ds_read_b32 v60, v52 offset:3520
	v_pack_b32_f16 v27, v57, v27
	s_waitcnt vmcnt(1)
	v_mul_f16_sdwa v57, v32, v93 dst_sel:DWORD dst_unused:UNUSED_PAD src0_sel:DWORD src1_sel:WORD_1
	v_fma_f16 v57, v33, v93, -v57
	v_mul_f16_sdwa v33, v33, v93 dst_sel:DWORD dst_unused:UNUSED_PAD src0_sel:DWORD src1_sel:WORD_1
	v_fma_f16 v32, v32, v93, v33
	v_pack_b32_f16 v32, v57, v32
	ds_write2_b32 v63, v27, v32 offset0:2 offset1:57
	s_waitcnt lgkmcnt(1)
	v_lshrrev_b32_e32 v27, 16, v60
	s_waitcnt vmcnt(0)
	v_mul_f16_sdwa v32, v27, v94 dst_sel:DWORD dst_unused:UNUSED_PAD src0_sel:DWORD src1_sel:WORD_1
	v_mul_f16_sdwa v33, v60, v94 dst_sel:DWORD dst_unused:UNUSED_PAD src0_sel:DWORD src1_sel:WORD_1
	v_fma_f16 v32, v60, v94, -v32
	v_fma_f16 v27, v27, v94, v33
	v_pack_b32_f16 v27, v32, v27
	ds_write_b32 v52, v27 offset:3520
.LBB0_13:
	s_or_b64 exec, exec, s[4:5]
	s_waitcnt lgkmcnt(0)
	s_barrier
	s_and_saveexec_b64 s[4:5], s[0:1]
	s_cbranch_execz .LBB0_15
; %bb.14:
	v_add_u32_e32 v21, 0x200, v52
	ds_read2_b32 v[25:26], v52 offset1:55
	ds_read2_b32 v[30:31], v52 offset0:110 offset1:165
	ds_read2_b32 v[28:29], v21 offset0:92 offset1:147
	v_add_u32_e32 v21, 0x400, v52
	ds_read2_b32 v[34:35], v21 offset0:74 offset1:129
	ds_read2_b32 v[36:37], v21 offset0:184 offset1:239
	v_add_u32_e32 v21, 0x800, v52
	;; [unrolled: 3-line block ×3, first 2 shown]
	ds_read2_b32 v[21:22], v21 offset0:2 offset1:57
	ds_read_b32 v42, v52 offset:3520
	s_waitcnt lgkmcnt(8)
	v_lshrrev_b32_e32 v54, 16, v25
	v_lshrrev_b32_e32 v55, 16, v26
	s_waitcnt lgkmcnt(7)
	v_lshrrev_b32_e32 v58, 16, v30
	v_lshrrev_b32_e32 v59, 16, v31
	;; [unrolled: 3-line block ×8, first 2 shown]
	s_waitcnt lgkmcnt(0)
	v_lshrrev_b32_e32 v236, 16, v42
.LBB0_15:
	s_or_b64 exec, exec, s[4:5]
	v_sub_f16_e32 v86, v55, v236
	v_add_f16_e32 v74, v42, v26
	v_add_f16_e32 v88, v236, v55
	s_movk_i32 s14, 0x3722
	v_mul_f16_e32 v96, 0xbb29, v86
	v_sub_f16_e32 v90, v58, v234
	v_sub_f16_e32 v75, v26, v42
	s_mov_b32 s17, 0xbb29
	v_mul_f16_e32 v98, 0x3722, v88
	v_fma_f16 v27, v74, s14, -v96
	s_mov_b32 s18, 0xb8d2
	v_add_f16_e32 v76, v22, v30
	v_add_f16_e32 v93, v234, v58
	v_mul_f16_e32 v101, 0xba62, v90
	v_add_f16_e32 v27, v25, v27
	v_fma_f16 v32, v75, s17, v98
	s_movk_i32 s15, 0x2de8
	v_mul_f16_e32 v102, 0xbbf7, v86
	s_mov_b32 s22, 0xba62
	v_sub_f16_e32 v77, v30, v22
	v_mul_f16_e32 v103, 0xb8d2, v93
	v_fma_f16 v78, v76, s18, -v101
	v_add_f16_e32 v32, v54, v32
	s_mov_b32 s19, 0xbbf7
	v_mul_f16_e32 v106, 0x2de8, v88
	v_fma_f16 v33, v74, s15, -v102
	v_add_f16_e32 v27, v78, v27
	v_fma_f16 v78, v77, s22, v103
	s_mov_b32 s21, 0xbbdd
	v_mul_f16_e32 v108, 0xb1e1, v90
	v_add_f16_e32 v33, v25, v33
	v_fma_f16 v57, v75, s19, v106
	s_mov_b32 s16, 0xb461
	v_mul_f16_e32 v110, 0xbbb2, v86
	v_add_f16_e32 v32, v78, v32
	s_mov_b32 s24, 0xb1e1
	v_mul_f16_e32 v113, 0xbbdd, v93
	v_fma_f16 v78, v76, s21, -v108
	v_add_f16_e32 v57, v54, v57
	s_mov_b32 s20, 0xbbb2
	v_mul_f16_e32 v115, 0xb461, v88
	v_fma_f16 v60, v74, s16, -v110
	v_add_f16_e32 v33, v78, v33
	v_fma_f16 v78, v77, s24, v113
	s_mov_b32 s23, 0xbacd
	v_mul_f16_e32 v120, 0x3836, v90
	v_add_f16_e32 v60, v25, v60
	v_fma_f16 v61, v75, s20, v115
	v_mul_f16_e32 v122, 0xba62, v86
	v_add_f16_e32 v57, v78, v57
	s_movk_i32 s27, 0x3836
	v_mul_f16_e32 v124, 0xbacd, v93
	v_fma_f16 v78, v76, s23, -v120
	v_add_f16_e32 v61, v54, v61
	v_mul_f16_e32 v127, 0xb8d2, v88
	v_fma_f16 v62, v74, s18, -v122
	v_add_f16_e32 v60, v78, v60
	v_fma_f16 v78, v77, s27, v124
	v_mul_f16_e32 v132, 0x3bb2, v90
	v_add_f16_e32 v62, v25, v62
	v_fma_f16 v63, v75, s22, v127
	v_add_f16_e32 v61, v78, v61
	s_movk_i32 s28, 0x3bb2
	v_mul_f16_e32 v136, 0xb461, v93
	v_fma_f16 v78, v76, s16, -v132
	v_add_f16_e32 v63, v54, v63
	v_add_f16_e32 v62, v78, v62
	v_fma_f16 v78, v77, s28, v136
	v_sub_f16_e32 v94, v59, v71
	v_add_f16_e32 v63, v78, v63
	v_add_f16_e32 v78, v21, v31
	;; [unrolled: 1-line block ×3, first 2 shown]
	v_mul_f16_e32 v107, 0x31e1, v94
	v_sub_f16_e32 v79, v31, v21
	s_movk_i32 s35, 0x31e1
	v_mul_f16_e32 v111, 0xbbdd, v95
	v_fma_f16 v80, v78, s21, -v107
	v_add_f16_e32 v27, v80, v27
	v_fma_f16 v80, v79, s35, v111
	v_mul_f16_e32 v116, 0x3bb2, v94
	v_add_f16_e32 v32, v80, v32
	v_mul_f16_e32 v121, 0xb461, v95
	v_fma_f16 v80, v78, s16, -v116
	v_add_f16_e32 v33, v80, v33
	v_fma_f16 v80, v79, s28, v121
	s_movk_i32 s25, 0x39e9
	v_mul_f16_e32 v129, 0x3964, v94
	v_add_f16_e32 v57, v80, v57
	s_movk_i32 s33, 0x3964
	v_mul_f16_e32 v133, 0x39e9, v95
	v_fma_f16 v80, v78, s25, -v129
	v_add_f16_e32 v60, v80, v60
	v_fma_f16 v80, v79, s33, v133
	s_movk_i32 s26, 0x3b76
	v_mul_f16_e32 v140, 0xb5c8, v94
	v_add_f16_e32 v61, v80, v61
	s_mov_b32 s29, 0xb5c8
	v_mul_f16_e32 v145, 0x3b76, v95
	v_fma_f16 v80, v78, s26, -v140
	v_add_f16_e32 v62, v80, v62
	v_fma_f16 v80, v79, s29, v145
	v_sub_f16_e32 v97, v56, v73
	v_add_f16_e32 v63, v80, v63
	v_add_f16_e32 v80, v41, v28
	;; [unrolled: 1-line block ×3, first 2 shown]
	v_mul_f16_e32 v114, 0x3bb2, v97
	v_sub_f16_e32 v81, v28, v41
	v_mul_f16_e32 v119, 0xb461, v99
	v_fma_f16 v82, v80, s16, -v114
	v_add_f16_e32 v27, v82, v27
	v_fma_f16 v82, v81, s28, v119
	v_mul_f16_e32 v126, 0x35c8, v97
	v_add_f16_e32 v32, v82, v32
	s_movk_i32 s31, 0x35c8
	v_mul_f16_e32 v131, 0x3b76, v99
	v_fma_f16 v82, v80, s26, -v126
	v_add_f16_e32 v33, v82, v33
	v_fma_f16 v82, v81, s31, v131
	v_mul_f16_e32 v137, 0xbb29, v97
	v_add_f16_e32 v57, v82, v57
	v_mul_f16_e32 v142, 0x3722, v99
	v_fma_f16 v82, v80, s14, -v137
	v_add_f16_e32 v60, v82, v60
	v_fma_f16 v82, v81, s17, v142
	v_mul_f16_e32 v148, 0xb836, v97
	v_add_f16_e32 v61, v82, v61
	s_mov_b32 s30, 0xb836
	v_mul_f16_e32 v153, 0xbacd, v99
	v_fma_f16 v82, v80, s23, -v148
	v_add_f16_e32 v62, v82, v62
	v_fma_f16 v82, v81, s30, v153
	v_sub_f16_e32 v100, v64, v72
	v_add_f16_e32 v63, v82, v63
	v_add_f16_e32 v82, v40, v29
	;; [unrolled: 1-line block ×3, first 2 shown]
	v_mul_f16_e32 v123, 0x3964, v100
	v_sub_f16_e32 v83, v29, v40
	v_mul_f16_e32 v128, 0x39e9, v104
	v_fma_f16 v84, v82, s25, -v123
	v_add_f16_e32 v27, v84, v27
	v_fma_f16 v84, v83, s33, v128
	v_mul_f16_e32 v134, 0xbb29, v100
	v_add_f16_e32 v32, v84, v32
	v_mul_f16_e32 v139, 0x3722, v104
	v_fma_f16 v84, v82, s14, -v134
	v_add_f16_e32 v33, v84, v33
	v_fma_f16 v84, v83, s17, v139
	v_mul_f16_e32 v144, 0xb1e1, v100
	v_add_f16_e32 v57, v84, v57
	;; [unrolled: 6-line block ×3, first 2 shown]
	s_movk_i32 s36, 0x3bf7
	v_mul_f16_e32 v159, 0x2de8, v104
	v_fma_f16 v84, v82, s15, -v155
	v_add_f16_e32 v62, v84, v62
	v_fma_f16 v84, v83, s36, v159
	v_sub_f16_e32 v105, v65, v70
	v_add_f16_e32 v63, v84, v63
	v_add_f16_e32 v84, v39, v34
	;; [unrolled: 1-line block ×3, first 2 shown]
	v_mul_f16_e32 v130, 0xb5c8, v105
	v_sub_f16_e32 v85, v34, v39
	v_mul_f16_e32 v135, 0x3b76, v109
	v_fma_f16 v87, v84, s26, -v130
	v_add_f16_e32 v27, v87, v27
	v_fma_f16 v87, v85, s29, v135
	v_mul_f16_e32 v141, 0xb836, v105
	v_add_f16_e32 v32, v87, v32
	v_mul_f16_e32 v147, 0xbacd, v109
	v_fma_f16 v87, v84, s23, -v141
	v_add_f16_e32 v33, v87, v33
	v_fma_f16 v87, v85, s30, v147
	v_mul_f16_e32 v152, 0x3bf7, v105
	v_add_f16_e32 v57, v87, v57
	;; [unrolled: 6-line block ×3, first 2 shown]
	s_mov_b32 s34, 0xb964
	v_mul_f16_e32 v164, 0x39e9, v109
	v_fma_f16 v87, v84, s25, -v161
	v_add_f16_e32 v62, v87, v62
	v_fma_f16 v87, v85, s34, v164
	v_sub_f16_e32 v112, v67, v69
	v_add_f16_e32 v63, v87, v63
	v_add_f16_e32 v87, v38, v35
	;; [unrolled: 1-line block ×3, first 2 shown]
	v_mul_f16_e32 v138, 0xbbf7, v112
	v_sub_f16_e32 v89, v35, v38
	v_mul_f16_e32 v143, 0x2de8, v117
	v_fma_f16 v91, v87, s15, -v138
	v_add_f16_e32 v27, v91, v27
	v_fma_f16 v91, v89, s19, v143
	v_mul_f16_e32 v150, 0x3a62, v112
	v_add_f16_e32 v32, v91, v32
	s_movk_i32 s37, 0x3a62
	v_mul_f16_e32 v154, 0xb8d2, v117
	v_fma_f16 v91, v87, s18, -v150
	v_add_f16_e32 v33, v91, v33
	v_fma_f16 v91, v89, s37, v154
	v_mul_f16_e32 v158, 0xb5c8, v112
	v_add_f16_e32 v163, v91, v57
	v_mul_f16_e32 v162, 0x3b76, v117
	v_fma_f16 v57, v87, s26, -v158
	v_add_f16_e32 v168, v57, v60
	v_fma_f16 v57, v89, s29, v162
	v_mul_f16_e32 v165, 0xb1e1, v112
	v_add_f16_e32 v169, v57, v61
	v_mul_f16_e32 v167, 0xbbdd, v117
	v_fma_f16 v57, v87, s21, -v165
	v_sub_f16_e32 v118, v68, v66
	v_add_f16_e32 v62, v57, v62
	v_fma_f16 v57, v89, s24, v167
	v_add_f16_e32 v91, v37, v36
	v_add_f16_e32 v125, v66, v68
	v_mul_f16_e32 v146, 0xb836, v118
	v_add_f16_e32 v170, v57, v63
	v_sub_f16_e32 v92, v36, v37
	v_mul_f16_e32 v151, 0xbacd, v125
	v_fma_f16 v57, v91, s23, -v146
	v_add_f16_e32 v57, v57, v27
	v_fma_f16 v27, v92, s30, v151
	v_mul_f16_e32 v156, 0x3964, v118
	v_add_f16_e32 v60, v27, v32
	v_mul_f16_e32 v160, 0x39e9, v125
	v_fma_f16 v27, v91, s25, -v156
	v_add_f16_e32 v33, v27, v33
	v_fma_f16 v27, v92, s33, v160
	v_add_f16_e32 v61, v27, v163
	v_mul_f16_e32 v163, 0xba62, v118
	v_mul_f16_e32 v166, 0xb8d2, v125
	v_fma_f16 v27, v91, s18, -v163
	v_add_f16_e32 v32, v27, v168
	v_fma_f16 v27, v92, s22, v166
	v_mul_f16_e32 v168, 0x3b29, v118
	v_add_f16_e32 v63, v27, v169
	s_movk_i32 s38, 0x3b29
	v_mul_f16_e32 v169, 0x3722, v125
	v_fma_f16 v27, v91, s14, -v168
	v_add_f16_e32 v27, v27, v62
	v_fma_f16 v62, v92, s38, v169
	v_add_f16_e32 v62, v62, v170
	s_barrier
	s_and_saveexec_b64 s[4:5], s[0:1]
	s_cbranch_execz .LBB0_17
; %bb.16:
	v_mul_f16_e32 v187, 0xbbdd, v88
	v_fma_f16 v235, v75, s35, v187
	v_mul_f16_e32 v180, 0x3b76, v93
	v_add_f16_e32 v235, v54, v235
	v_fma_f16 v237, v77, s29, v180
	v_add_f16_e32 v235, v237, v235
	v_mul_f16_e32 v237, 0xbacd, v95
	v_fma_f16 v238, v79, s27, v237
	v_add_f16_e32 v235, v238, v235
	v_mul_f16_e32 v238, 0x39e9, v99
	;; [unrolled: 3-line block ×7, first 2 shown]
	v_add_f16_e32 v26, v26, v25
	v_fma_f16 v244, v74, s21, v243
	v_mul_f16_e32 v172, 0x35c8, v90
	v_add_f16_e32 v26, v30, v26
	v_add_f16_e32 v244, v25, v244
	v_fma_f16 v246, v76, s26, v172
	v_add_f16_e32 v26, v31, v26
	v_add_f16_e32 v244, v246, v244
	v_mul_f16_e32 v246, 0xb836, v94
	v_add_f16_e32 v26, v28, v26
	v_fma_f16 v247, v78, s23, v246
	v_add_f16_e32 v26, v29, v26
	v_add_f16_e32 v244, v247, v244
	v_mul_f16_e32 v247, 0x3964, v97
	;; [unrolled: 5-line block ×4, first 2 shown]
	v_add_f16_e32 v26, v38, v26
	v_fma_f16 v250, v84, s14, v249
	v_add_f16_e32 v26, v39, v26
	v_mul_f16_e32 v173, 0xbbf7, v75
	v_add_f16_e32 v244, v250, v244
	v_mul_f16_e32 v250, 0xbbb2, v112
	;; [unrolled: 2-line block ×3, first 2 shown]
	v_fma_f16 v251, v87, s16, v250
	v_sub_f16_e32 v106, v106, v173
	v_add_f16_e32 v26, v41, v26
	v_mul_f16_e32 v189, 0x3bb2, v79
	v_add_f16_e32 v244, v251, v244
	v_mul_f16_e32 v251, 0x3bf7, v118
	v_add_f16_e32 v106, v54, v106
	v_sub_f16_e32 v113, v113, v181
	v_add_f16_e32 v21, v21, v26
	v_fma_f16 v26, v75, s24, v187
	v_mul_f16_e32 v197, 0x35c8, v81
	v_fma_f16 v252, v91, s15, v251
	v_add_f16_e32 v106, v113, v106
	v_sub_f16_e32 v113, v121, v189
	v_add_f16_e32 v26, v54, v26
	v_fma_f16 v28, v77, s31, v180
	v_mul_f16_e32 v205, 0xbb29, v83
	buffer_store_dword v48, off, s[40:43], 0 offset:4 ; 4-byte Folded Spill
	v_add_f16_e32 v48, v252, v244
	v_mul_f16_e32 v252, 0xbacd, v88
	v_add_f16_e32 v106, v113, v106
	v_sub_f16_e32 v113, v131, v197
	v_add_f16_e32 v26, v28, v26
	v_fma_f16 v28, v79, s30, v237
	v_mul_f16_e32 v213, 0xb836, v85
	v_fma_f16 v253, v75, s27, v252
	v_mul_f16_e32 v254, 0x3722, v93
	v_add_f16_e32 v106, v113, v106
	v_sub_f16_e32 v113, v139, v205
	v_add_f16_e32 v26, v28, v26
	v_fma_f16 v28, v81, s33, v238
	v_mul_f16_e32 v221, 0x3a62, v89
	v_add_f16_e32 v253, v54, v253
	v_fma_f16 v255, v77, s17, v254
	v_add_f16_e32 v106, v113, v106
	v_sub_f16_e32 v113, v147, v213
	v_add_f16_e32 v26, v28, v26
	v_fma_f16 v28, v83, s22, v239
	v_mul_f16_e32 v49, 0x3964, v92
	v_add_f16_e32 v253, v255, v253
	v_mul_f16_e32 v255, 0x2de8, v95
	v_add_f16_e32 v106, v113, v106
	v_sub_f16_e32 v113, v154, v221
	v_add_f16_e32 v26, v28, v26
	v_fma_f16 v28, v85, s38, v240
	v_fma_f16 v46, v79, s36, v255
	v_add_f16_e32 v106, v113, v106
	v_sub_f16_e32 v113, v160, v49
	v_mul_f16_e32 v49, 0xbb29, v75
	v_add_f16_e32 v26, v28, v26
	v_fma_f16 v28, v89, s20, v241
	v_add_f16_e32 v46, v46, v253
	v_mul_f16_e32 v253, 0xb8d2, v99
	v_sub_f16_e32 v98, v98, v49
	v_mul_f16_e32 v49, 0xba62, v77
	v_add_f16_e32 v26, v28, v26
	v_fma_f16 v28, v92, s36, v242
	v_fma_f16 v45, v81, s22, v253
	v_add_f16_e32 v98, v54, v98
	v_sub_f16_e32 v103, v103, v49
	v_mul_f16_e32 v49, 0x31e1, v79
	v_add_f16_e32 v26, v28, v26
	v_fma_f16 v28, v74, s21, -v243
	v_add_f16_e32 v45, v45, v46
	v_mul_f16_e32 v46, 0x3b76, v104
	v_add_f16_e32 v98, v103, v98
	v_sub_f16_e32 v103, v111, v49
	v_mul_f16_e32 v49, 0x3722, v74
	v_add_f16_e32 v28, v25, v28
	v_fma_f16 v29, v76, s26, -v172
	buffer_store_dword v44, off, s[40:43], 0 offset:16 ; 4-byte Folded Spill
	v_fma_f16 v44, v83, s31, v46
	v_add_f16_e32 v96, v49, v96
	v_mul_f16_e32 v49, 0xb8d2, v76
	v_add_f16_e32 v28, v29, v28
	v_fma_f16 v29, v78, s23, -v246
	v_mul_f16_e32 v210, 0x2de8, v74
	v_add_f16_e32 v44, v44, v45
	v_mul_f16_e32 v45, 0xbbdd, v109
	v_add_f16_e32 v96, v25, v96
	v_add_f16_e32 v101, v49, v101
	v_mul_f16_e32 v49, 0xbbdd, v78
	v_add_f16_e32 v28, v29, v28
	v_fma_f16 v29, v80, s25, -v247
	v_mul_f16_e32 v195, 0xbbdd, v76
	v_fma_f16 v235, v85, s35, v45
	v_add_f16_e32 v102, v210, v102
	v_add_f16_e32 v96, v101, v96
	;; [unrolled: 1-line block ×3, first 2 shown]
	v_mul_f16_e32 v49, 0xb461, v80
	v_add_f16_e32 v28, v29, v28
	v_fma_f16 v29, v82, s18, -v248
	v_mul_f16_e32 v188, 0xb461, v78
	v_mul_f16_e32 v202, 0x3bb2, v81
	v_add_f16_e32 v44, v235, v44
	v_mul_f16_e32 v235, 0x39e9, v117
	v_add_f16_e32 v102, v25, v102
	v_add_f16_e32 v108, v195, v108
	v_add_f16_e32 v96, v101, v96
	v_add_f16_e32 v101, v49, v114
	v_mul_f16_e32 v49, 0x39e9, v82
	v_add_f16_e32 v28, v29, v28
	v_fma_f16 v29, v84, s14, -v249
	v_mul_f16_e32 v196, 0x3b76, v80
	v_mul_f16_e32 v203, 0x3964, v83
	v_fma_f16 v244, v89, s34, v235
	v_add_f16_e32 v102, v108, v102
	v_add_f16_e32 v108, v188, v116
	;; [unrolled: 1-line block ×3, first 2 shown]
	v_sub_f16_e32 v103, v119, v202
	v_add_f16_e32 v96, v101, v96
	v_add_f16_e32 v101, v49, v123
	v_mul_f16_e32 v49, 0x3b76, v84
	v_add_f16_e32 v28, v29, v28
	v_fma_f16 v29, v87, s16, -v250
	v_mul_f16_e32 v204, 0x3722, v82
	v_mul_f16_e32 v211, 0xb5c8, v85
	;; [unrolled: 1-line block ×3, first 2 shown]
	v_add_f16_e32 v44, v244, v44
	v_mul_f16_e32 v244, 0xb461, v125
	v_add_f16_e32 v102, v108, v102
	v_add_f16_e32 v108, v196, v126
	;; [unrolled: 1-line block ×3, first 2 shown]
	v_sub_f16_e32 v103, v128, v203
	v_add_f16_e32 v96, v101, v96
	v_add_f16_e32 v101, v49, v130
	v_add_f16_e32 v28, v29, v28
	v_fma_f16 v29, v91, s15, -v251
	v_mul_f16_e32 v212, 0xbacd, v84
	v_mul_f16_e32 v219, 0xbbf7, v89
	v_mul_f16_e32 v226, 0xbacd, v91
	v_fma_f16 v53, v92, s28, v244
	v_add_f16_e32 v102, v108, v102
	v_add_f16_e32 v108, v204, v134
	;; [unrolled: 1-line block ×3, first 2 shown]
	v_sub_f16_e32 v103, v135, v211
	v_add_f16_e32 v96, v101, v96
	v_add_f16_e32 v101, v218, v138
	;; [unrolled: 1-line block ×3, first 2 shown]
	v_fma_f16 v29, v75, s30, v252
	v_mul_f16_e32 v220, 0xb8d2, v87
	v_mul_f16_e32 v227, 0xb836, v92
	v_add_f16_e32 v44, v53, v44
	v_mul_f16_e32 v53, 0xb836, v86
	v_add_f16_e32 v102, v108, v102
	v_add_f16_e32 v108, v212, v141
	v_add_f16_e32 v98, v103, v98
	v_sub_f16_e32 v103, v143, v219
	v_add_f16_e32 v96, v101, v96
	v_add_f16_e32 v101, v226, v146
	;; [unrolled: 1-line block ×3, first 2 shown]
	v_fma_f16 v30, v77, s38, v254
	v_mul_f16_e32 v50, 0x39e9, v91
	buffer_store_dword v44, off, s[40:43], 0 offset:12 ; 4-byte Folded Spill
	v_fma_f16 v44, v74, s23, v53
	buffer_store_dword v43, off, s[40:43], 0 offset:20 ; 4-byte Folded Spill
	v_mul_f16_e32 v43, 0x3b29, v90
	v_add_f16_e32 v102, v108, v102
	v_add_f16_e32 v108, v220, v150
	;; [unrolled: 1-line block ×3, first 2 shown]
	v_sub_f16_e32 v103, v151, v227
	v_add_f16_e32 v96, v101, v96
	v_mul_f16_e32 v101, 0x39e9, v88
	v_add_f16_e32 v29, v30, v29
	v_fma_f16 v30, v79, s19, v255
	v_add_f16_e32 v44, v25, v44
	v_fma_f16 v170, v76, s14, v43
	v_add_f16_e32 v102, v108, v102
	v_add_f16_e32 v108, v50, v156
	;; [unrolled: 1-line block ×3, first 2 shown]
	v_fma_f16 v103, v75, s33, v101
	v_mul_f16_e32 v107, 0x2de8, v93
	v_add_f16_e32 v29, v30, v29
	v_fma_f16 v30, v81, s37, v253
	v_add_f16_e32 v44, v170, v44
	v_mul_f16_e32 v170, 0xbbf7, v94
	v_add_f16_e32 v102, v108, v102
	v_add_f16_e32 v103, v54, v103
	v_fma_f16 v108, v77, s36, v107
	v_add_f16_e32 v29, v30, v29
	v_fma_f16 v30, v83, s29, v46
	v_fma_f16 v178, v78, s15, v170
	v_add_f16_e32 v103, v108, v103
	v_mul_f16_e32 v108, 0xb8d2, v95
	v_add_f16_e32 v29, v30, v29
	v_fma_f16 v30, v85, s24, v45
	v_add_f16_e32 v44, v178, v44
	v_mul_f16_e32 v178, 0x3a62, v97
	v_fma_f16 v111, v79, s37, v108
	v_add_f16_e32 v29, v30, v29
	v_fma_f16 v30, v89, s33, v235
	v_mul_f16_e32 v174, 0xb461, v74
	v_fma_f16 v186, v80, s18, v178
	v_add_f16_e32 v103, v111, v103
	v_mul_f16_e32 v111, 0xbbdd, v99
	v_add_f16_e32 v29, v30, v29
	v_fma_f16 v30, v92, s20, v244
	v_mul_f16_e32 v182, 0xbacd, v76
	v_add_f16_e32 v44, v186, v44
	v_mul_f16_e32 v186, 0xb5c8, v100
	v_add_f16_e32 v110, v174, v110
	v_add_f16_e32 v106, v113, v106
	v_fma_f16 v113, v81, s35, v111
	v_add_f16_e32 v29, v30, v29
	v_fma_f16 v30, v74, s23, -v53
	v_mul_f16_e32 v190, 0x39e9, v78
	buffer_store_dword v48, off, s[40:43], 0 offset:8 ; 4-byte Folded Spill
	v_fma_f16 v48, v82, s26, v186
	v_add_f16_e32 v110, v25, v110
	v_add_f16_e32 v120, v182, v120
	;; [unrolled: 1-line block ×3, first 2 shown]
	v_mul_f16_e32 v113, 0xbacd, v104
	v_add_f16_e32 v30, v25, v30
	v_fma_f16 v31, v76, s14, -v43
	v_mul_f16_e32 v175, 0xbbb2, v75
	v_mul_f16_e32 v198, 0x3722, v80
	v_add_f16_e32 v44, v48, v44
	v_mul_f16_e32 v48, 0xb1e1, v105
	v_add_f16_e32 v110, v120, v110
	v_add_f16_e32 v120, v190, v129
	v_fma_f16 v114, v83, s30, v113
	v_add_f16_e32 v30, v31, v30
	v_fma_f16 v31, v78, s15, -v170
	v_mul_f16_e32 v183, 0x3836, v77
	v_mul_f16_e32 v206, 0xbbdd, v82
	buffer_store_dword v171, off, s[40:43], 0 ; 4-byte Folded Spill
	v_fma_f16 v171, v84, s21, v48
	v_sub_f16_e32 v115, v115, v175
	v_add_f16_e32 v110, v120, v110
	v_add_f16_e32 v120, v198, v137
	;; [unrolled: 1-line block ×3, first 2 shown]
	v_mul_f16_e32 v114, 0xb461, v109
	v_add_f16_e32 v30, v31, v30
	v_fma_f16 v31, v80, s18, -v178
	v_mul_f16_e32 v191, 0x3964, v79
	v_mul_f16_e32 v214, 0x2de8, v84
	v_add_f16_e32 v44, v171, v44
	v_mul_f16_e32 v171, 0x3964, v112
	v_add_f16_e32 v115, v54, v115
	v_sub_f16_e32 v124, v124, v183
	v_add_f16_e32 v110, v120, v110
	v_add_f16_e32 v120, v206, v144
	v_fma_f16 v116, v85, s20, v114
	v_add_f16_e32 v30, v31, v30
	v_fma_f16 v31, v82, s26, -v186
	v_mul_f16_e32 v199, 0xbb29, v81
	v_mul_f16_e32 v222, 0x3b76, v87
	v_fma_f16 v194, v87, s25, v171
	v_add_f16_e32 v115, v124, v115
	v_sub_f16_e32 v124, v133, v191
	v_add_f16_e32 v110, v120, v110
	v_add_f16_e32 v120, v214, v152
	;; [unrolled: 1-line block ×3, first 2 shown]
	v_mul_f16_e32 v116, 0x3722, v117
	v_add_f16_e32 v30, v31, v30
	v_fma_f16 v31, v84, s21, -v48
	v_mul_f16_e32 v207, 0xb1e1, v83
	v_mul_f16_e32 v230, 0xb8d2, v91
	v_add_f16_e32 v44, v194, v44
	v_mul_f16_e32 v194, 0xbbb2, v118
	v_add_f16_e32 v115, v124, v115
	v_sub_f16_e32 v124, v142, v199
	v_add_f16_e32 v110, v120, v110
	v_add_f16_e32 v120, v222, v158
	v_fma_f16 v119, v89, s17, v116
	v_add_f16_e32 v30, v31, v30
	v_fma_f16 v31, v87, s25, -v171
	v_mul_f16_e32 v215, 0x3bf7, v85
	v_add_f16_e32 v115, v124, v115
	v_sub_f16_e32 v124, v149, v207
	v_add_f16_e32 v110, v120, v110
	v_add_f16_e32 v120, v230, v163
	;; [unrolled: 1-line block ×3, first 2 shown]
	v_mul_f16_e32 v119, 0x3b76, v125
	v_add_f16_e32 v30, v31, v30
	v_fma_f16 v31, v91, s16, -v194
	v_mul_f16_e32 v223, 0xb5c8, v89
	v_add_f16_e32 v115, v124, v115
	v_sub_f16_e32 v124, v157, v215
	v_add_f16_e32 v110, v120, v110
	v_fma_f16 v120, v92, s29, v119
	v_add_f16_e32 v30, v31, v30
	v_fma_f16 v31, v75, s34, v101
	v_mul_f16_e32 v231, 0xba62, v92
	v_add_f16_e32 v115, v124, v115
	v_sub_f16_e32 v124, v162, v223
	v_add_f16_e32 v103, v120, v103
	v_mul_f16_e32 v120, 0xb964, v86
	v_add_f16_e32 v31, v54, v31
	v_fma_f16 v34, v77, s19, v107
	v_add_f16_e32 v115, v124, v115
	v_sub_f16_e32 v124, v166, v231
	v_fma_f16 v121, v74, s25, v120
	v_mul_f16_e32 v123, 0xbbf7, v90
	v_add_f16_e32 v31, v34, v31
	v_fma_f16 v34, v79, s22, v108
	v_add_f16_e32 v115, v124, v115
	v_add_f16_e32 v121, v25, v121
	v_fma_f16 v124, v76, s15, v123
	v_add_f16_e32 v31, v34, v31
	v_fma_f16 v34, v81, s24, v111
	v_add_f16_e32 v121, v124, v121
	v_mul_f16_e32 v124, 0xba62, v94
	v_add_f16_e32 v31, v34, v31
	v_fma_f16 v34, v83, s27, v113
	v_fma_f16 v126, v78, s18, v124
	v_add_f16_e32 v31, v34, v31
	v_fma_f16 v34, v85, s28, v114
	v_mul_f16_e32 v176, 0xb8d2, v74
	v_add_f16_e32 v121, v126, v121
	v_mul_f16_e32 v126, 0xb1e1, v97
	v_add_f16_e32 v31, v34, v31
	v_fma_f16 v34, v89, s38, v116
	v_mul_f16_e32 v184, 0xb461, v76
	v_add_f16_e32 v122, v176, v122
	v_fma_f16 v128, v80, s21, v126
	v_add_f16_e32 v31, v34, v31
	v_fma_f16 v34, v92, s31, v119
	v_mul_f16_e32 v192, 0x3b76, v78
	v_add_f16_e32 v122, v25, v122
	v_add_f16_e32 v132, v184, v132
	v_add_f16_e32 v121, v128, v121
	v_mul_f16_e32 v128, 0x3836, v100
	v_add_f16_e32 v31, v34, v31
	v_fma_f16 v34, v74, s25, -v120
	v_mul_f16_e32 v200, 0xbacd, v80
	v_add_f16_e32 v122, v132, v122
	v_add_f16_e32 v132, v192, v140
	v_fma_f16 v129, v82, s23, v128
	v_add_f16_e32 v34, v25, v34
	v_fma_f16 v35, v76, s15, -v123
	v_mul_f16_e32 v208, 0x2de8, v82
	v_add_f16_e32 v122, v132, v122
	v_add_f16_e32 v132, v200, v148
	v_add_f16_e32 v121, v129, v121
	v_mul_f16_e32 v129, 0x3bb2, v105
	v_add_f16_e32 v34, v35, v34
	v_fma_f16 v35, v78, s18, -v124
	v_mul_f16_e32 v216, 0x39e9, v84
	v_add_f16_e32 v122, v132, v122
	v_add_f16_e32 v132, v208, v155
	v_fma_f16 v130, v84, s16, v129
	v_add_f16_e32 v34, v35, v34
	v_fma_f16 v35, v80, s21, -v126
	;; [unrolled: 13-line block ×3, first 2 shown]
	v_add_f16_e32 v122, v132, v122
	v_add_f16_e32 v132, v232, v168
	;; [unrolled: 1-line block ×3, first 2 shown]
	v_mul_f16_e32 v131, 0x35c8, v118
	v_add_f16_e32 v34, v35, v34
	v_fma_f16 v35, v87, s14, -v130
	v_add_f16_e32 v122, v132, v122
	v_fma_f16 v132, v91, s26, v131
	v_mul_f16_e32 v88, 0x3b76, v88
	v_add_f16_e32 v34, v35, v34
	v_fma_f16 v35, v91, s26, -v131
	v_add_f16_e32 v121, v132, v121
	v_fma_f16 v132, v75, s31, v88
	v_mul_f16_e32 v93, 0x39e9, v93
	v_add_f16_e32 v34, v35, v34
	v_fma_f16 v35, v75, s29, v88
	v_add_f16_e32 v132, v54, v132
	v_fma_f16 v133, v77, s33, v93
	v_mul_f16_e32 v95, 0x3722, v95
	v_add_f16_e32 v35, v54, v35
	v_fma_f16 v36, v77, s34, v93
	;; [unrolled: 5-line block ×8, first 2 shown]
	v_add_f16_e32 v132, v133, v132
	v_fma_f16 v133, v74, s26, v86
	v_mul_f16_e32 v90, 0xb964, v90
	v_add_f16_e32 v35, v36, v35
	v_fma_f16 v36, v74, s26, -v86
	v_add_f16_e32 v133, v25, v133
	v_mul_f16_e32 v94, 0xbb29, v94
	v_add_f16_e32 v25, v25, v36
	v_fma_f16 v36, v76, s25, -v90
	v_mul_f16_e32 v97, 0xbbf7, v97
	v_add_f16_e32 v25, v36, v25
	v_fma_f16 v36, v78, s14, -v94
	;; [unrolled: 3-line block ×6, first 2 shown]
	v_add_f16_e32 v25, v36, v25
	v_fma_f16 v36, v91, s21, -v118
	buffer_load_dword v171, off, s[40:43], 0 ; 4-byte Folded Reload
	v_add_f16_e32 v25, v36, v25
	buffer_load_dword v36, off, s[40:43], 0 offset:16 ; 4-byte Folded Reload
	buffer_load_dword v37, off, s[40:43], 0 offset:20 ; 4-byte Folded Reload
	v_add_f16_e32 v21, v22, v21
	v_add_f16_e32 v22, v55, v54
	;; [unrolled: 1-line block ×9, first 2 shown]
	v_fma_f16 v134, v76, s25, v90
	v_add_f16_e32 v22, v66, v22
	v_add_f16_e32 v133, v134, v133
	v_fma_f16 v134, v78, s14, v94
	v_add_f16_e32 v22, v69, v22
	v_add_f16_e32 v133, v134, v133
	;; [unrolled: 3-line block ×7, first 2 shown]
	v_add_f16_e32 v21, v42, v21
	v_add_f16_e32 v22, v236, v22
	v_pack_b32_f16 v21, v21, v22
	v_pack_b32_f16 v22, v121, v103
	v_mul_f16_e32 v177, 0xba62, v75
	v_mul_f16_e32 v185, 0x3bb2, v77
	v_sub_f16_e32 v127, v127, v177
	v_mul_f16_e32 v193, 0xb5c8, v79
	v_add_f16_e32 v127, v54, v127
	v_sub_f16_e32 v136, v136, v185
	v_mul_f16_e32 v201, 0xb836, v81
	v_add_f16_e32 v127, v136, v127
	v_sub_f16_e32 v136, v145, v193
	v_mul_f16_e32 v209, 0x3bf7, v83
	v_add_f16_e32 v127, v136, v127
	v_sub_f16_e32 v136, v153, v201
	v_mul_f16_e32 v217, 0xb964, v85
	v_add_f16_e32 v127, v136, v127
	v_sub_f16_e32 v136, v159, v209
	v_mul_f16_e32 v225, 0xb1e1, v89
	v_add_f16_e32 v127, v136, v127
	v_sub_f16_e32 v136, v164, v217
	v_mul_f16_e32 v233, 0x3b29, v92
	v_add_f16_e32 v127, v136, v127
	v_sub_f16_e32 v136, v167, v225
	v_fma_f16 v179, v91, s16, v194
	v_add_f16_e32 v127, v136, v127
	v_sub_f16_e32 v136, v169, v233
	v_add_f16_e32 v44, v179, v44
	v_add_f16_e32 v127, v136, v127
	s_mov_b32 s14, 0x5040100
	s_waitcnt vmcnt(0)
	v_lshl_add_u32 v36, v36, 2, v37
	v_pack_b32_f16 v37, v133, v132
	ds_write2_b32 v36, v21, v37 offset1:1
	v_pack_b32_f16 v21, v96, v98
	ds_write2_b32 v36, v22, v21 offset0:2 offset1:3
	v_pack_b32_f16 v21, v110, v115
	v_pack_b32_f16 v22, v102, v106
	ds_write2_b32 v36, v22, v21 offset0:4 offset1:5
	buffer_load_dword v22, off, s[40:43], 0 offset:12 ; 4-byte Folded Reload
	v_pack_b32_f16 v21, v122, v127
	s_waitcnt vmcnt(0)
	v_pack_b32_f16 v22, v44, v22
	ds_write2_b32 v36, v21, v22 offset0:6 offset1:7
	v_pack_b32_f16 v21, v28, v26
	buffer_load_dword v22, off, s[40:43], 0 offset:4 ; 4-byte Folded Reload
	buffer_load_dword v26, off, s[40:43], 0 offset:8 ; 4-byte Folded Reload
	s_waitcnt vmcnt(0)
	v_pack_b32_f16 v22, v26, v22
	ds_write2_b32 v36, v22, v21 offset0:8 offset1:9
	v_pack_b32_f16 v21, v30, v29
	v_perm_b32 v22, v62, v27, s14
	ds_write2_b32 v36, v21, v22 offset0:10 offset1:11
	v_perm_b32 v21, v61, v33, s14
	v_perm_b32 v22, v63, v32, s14
	ds_write2_b32 v36, v22, v21 offset0:12 offset1:13
	v_pack_b32_f16 v21, v34, v31
	v_perm_b32 v22, v60, v57, s14
	ds_write2_b32 v36, v22, v21 offset0:14 offset1:15
	v_pack_b32_f16 v21, v25, v35
	ds_write_b32 v36, v21 offset:64
.LBB0_17:
	s_or_b64 exec, exec, s[4:5]
	s_waitcnt lgkmcnt(0)
	s_barrier
	ds_read2_b32 v[21:22], v47 offset1:85
	ds_read2_b32 v[28:29], v47 offset0:170 offset1:255
	v_add_u32_e32 v38, 0x400, v47
	ds_read2_b32 v[30:31], v38 offset0:84 offset1:169
	v_add_u32_e32 v25, 0x600, v47
	s_waitcnt lgkmcnt(2)
	v_lshrrev_b32_e32 v26, 16, v22
	ds_read2_b32 v[34:35], v25 offset0:126 offset1:211
	v_mul_f16_sdwa v53, v4, v26 dst_sel:DWORD dst_unused:UNUSED_PAD src0_sel:WORD_1 src1_sel:DWORD
	s_waitcnt lgkmcnt(2)
	v_lshrrev_b32_e32 v39, 16, v28
	v_add_u32_e32 v25, 0x800, v47
	v_fma_f16 v53, v4, v22, v53
	v_mul_f16_sdwa v22, v4, v22 dst_sel:DWORD dst_unused:UNUSED_PAD src0_sel:WORD_1 src1_sel:DWORD
	v_lshrrev_b32_e32 v40, 16, v29
	ds_read2_b32 v[36:37], v25 offset0:168 offset1:253
	v_fma_f16 v4, v4, v26, -v22
	v_mul_f16_sdwa v22, v5, v39 dst_sel:DWORD dst_unused:UNUSED_PAD src0_sel:WORD_1 src1_sel:DWORD
	v_mul_f16_sdwa v26, v5, v28 dst_sel:DWORD dst_unused:UNUSED_PAD src0_sel:WORD_1 src1_sel:DWORD
	s_waitcnt lgkmcnt(2)
	v_lshrrev_b32_e32 v41, 16, v30
	v_fma_f16 v22, v5, v28, v22
	v_fma_f16 v5, v5, v39, -v26
	v_mul_f16_sdwa v26, v6, v40 dst_sel:DWORD dst_unused:UNUSED_PAD src0_sel:WORD_1 src1_sel:DWORD
	v_mul_f16_sdwa v28, v6, v29 dst_sel:DWORD dst_unused:UNUSED_PAD src0_sel:WORD_1 src1_sel:DWORD
	v_lshrrev_b32_e32 v43, 16, v31
	ds_read_b32 v44, v47 offset:3400
	v_fma_f16 v26, v6, v29, v26
	v_fma_f16 v6, v6, v40, -v28
	v_mul_f16_sdwa v28, v7, v41 dst_sel:DWORD dst_unused:UNUSED_PAD src0_sel:WORD_1 src1_sel:DWORD
	v_mul_f16_sdwa v29, v7, v30 dst_sel:DWORD dst_unused:UNUSED_PAD src0_sel:WORD_1 src1_sel:DWORD
	s_waitcnt lgkmcnt(2)
	v_lshrrev_b32_e32 v45, 16, v34
	v_fma_f16 v28, v7, v30, v28
	v_fma_f16 v7, v7, v41, -v29
	v_mul_f16_sdwa v29, v8, v43 dst_sel:DWORD dst_unused:UNUSED_PAD src0_sel:WORD_1 src1_sel:DWORD
	v_mul_f16_sdwa v30, v8, v31 dst_sel:DWORD dst_unused:UNUSED_PAD src0_sel:WORD_1 src1_sel:DWORD
	v_lshrrev_b32_e32 v46, 16, v35
	v_fma_f16 v29, v8, v31, v29
	v_fma_f16 v8, v8, v43, -v30
	v_mul_f16_sdwa v30, v9, v45 dst_sel:DWORD dst_unused:UNUSED_PAD src0_sel:WORD_1 src1_sel:DWORD
	v_mul_f16_sdwa v31, v9, v34 dst_sel:DWORD dst_unused:UNUSED_PAD src0_sel:WORD_1 src1_sel:DWORD
	s_waitcnt lgkmcnt(1)
	v_lshrrev_b32_e32 v48, 16, v36
	v_fma_f16 v30, v9, v34, v30
	v_fma_f16 v9, v9, v45, -v31
	v_mul_f16_sdwa v31, v10, v46 dst_sel:DWORD dst_unused:UNUSED_PAD src0_sel:WORD_1 src1_sel:DWORD
	v_mul_f16_sdwa v34, v10, v35 dst_sel:DWORD dst_unused:UNUSED_PAD src0_sel:WORD_1 src1_sel:DWORD
	v_lshrrev_b32_e32 v49, 16, v37
	v_fma_f16 v31, v10, v35, v31
	v_fma_f16 v10, v10, v46, -v34
	v_mul_f16_sdwa v34, v11, v48 dst_sel:DWORD dst_unused:UNUSED_PAD src0_sel:WORD_1 src1_sel:DWORD
	v_mul_f16_sdwa v35, v11, v36 dst_sel:DWORD dst_unused:UNUSED_PAD src0_sel:WORD_1 src1_sel:DWORD
	s_waitcnt lgkmcnt(0)
	v_lshrrev_b32_e32 v50, 16, v44
	v_fma_f16 v34, v11, v36, v34
	v_fma_f16 v11, v11, v48, -v35
	v_mul_f16_sdwa v35, v23, v49 dst_sel:DWORD dst_unused:UNUSED_PAD src0_sel:WORD_1 src1_sel:DWORD
	v_mul_f16_sdwa v36, v23, v37 dst_sel:DWORD dst_unused:UNUSED_PAD src0_sel:WORD_1 src1_sel:DWORD
	v_fma_f16 v35, v23, v37, v35
	v_fma_f16 v23, v23, v49, -v36
	v_mul_f16_sdwa v36, v24, v50 dst_sel:DWORD dst_unused:UNUSED_PAD src0_sel:WORD_1 src1_sel:DWORD
	v_mul_f16_sdwa v37, v24, v44 dst_sel:DWORD dst_unused:UNUSED_PAD src0_sel:WORD_1 src1_sel:DWORD
	v_fma_f16 v36, v24, v44, v36
	v_fma_f16 v24, v24, v50, -v37
	v_add_f16_e32 v37, v21, v53
	v_add_f16_sdwa v39, v21, v4 dst_sel:DWORD dst_unused:UNUSED_PAD src0_sel:WORD_1 src1_sel:DWORD
	v_add_f16_e32 v37, v37, v22
	v_add_f16_e32 v39, v39, v5
	;; [unrolled: 1-line block ×17, first 2 shown]
	v_sub_f16_e32 v4, v4, v24
	v_add_f16_e32 v37, v37, v36
	v_add_f16_e32 v39, v39, v24
	;; [unrolled: 1-line block ×3, first 2 shown]
	v_sub_f16_e32 v36, v53, v36
	s_mov_b32 s17, 0xb853
	v_mul_f16_e32 v24, 0xb853, v4
	s_movk_i32 s18, 0x3abb
	v_mul_f16_e32 v44, 0x3abb, v41
	s_movk_i32 s19, 0x3853
	s_mov_b32 s5, 0xbb47
	v_mul_f16_e32 v46, 0xbb47, v4
	s_movk_i32 s14, 0x36a6
	v_mul_f16_e32 v49, 0x36a6, v41
	s_movk_i32 s15, 0x3b47
	s_mov_b32 s4, 0xbbeb
	v_mul_f16_e32 v53, 0xbbeb, v4
	s_mov_b32 s16, 0xb08e
	v_mul_f16_e32 v55, 0xb08e, v41
	s_movk_i32 s20, 0x3beb
	s_mov_b32 s21, 0xba0c
	v_mul_f16_e32 v58, 0xba0c, v4
	s_mov_b32 s22, 0xb93d
	;; [unrolled: 5-line block ×3, first 2 shown]
	v_mul_f16_e32 v41, 0xbbad, v41
	s_movk_i32 s26, 0x3482
	v_fma_f16 v43, v40, s18, v24
	v_fma_f16 v45, v36, s19, v44
	v_fma_f16 v24, v40, s18, -v24
	v_fma_f16 v44, v36, s17, v44
	v_fma_f16 v48, v40, s14, v46
	v_fma_f16 v50, v36, s15, v49
	v_fma_f16 v46, v40, s14, -v46
	v_fma_f16 v49, v36, s5, v49
	v_fma_f16 v54, v40, s16, v53
	v_fma_f16 v56, v36, s20, v55
	v_fma_f16 v53, v40, s16, -v53
	v_fma_f16 v55, v36, s4, v55
	v_fma_f16 v59, v40, s22, v58
	v_fma_f16 v65, v36, s23, v64
	v_fma_f16 v58, v40, s22, -v58
	v_fma_f16 v64, v36, s21, v64
	v_fma_f16 v66, v40, s25, v4
	v_fma_f16 v67, v36, s26, v41
	v_fma_f16 v4, v40, s25, -v4
	v_fma_f16 v36, v36, s24, v41
	v_add_f16_e32 v40, v5, v23
	v_sub_f16_e32 v5, v5, v23
	v_add_f16_e32 v43, v21, v43
	v_add_f16_sdwa v45, v21, v45 dst_sel:DWORD dst_unused:UNUSED_PAD src0_sel:WORD_1 src1_sel:DWORD
	v_add_f16_e32 v24, v21, v24
	v_add_f16_sdwa v44, v21, v44 dst_sel:DWORD dst_unused:UNUSED_PAD src0_sel:WORD_1 src1_sel:DWORD
	;; [unrolled: 2-line block ×10, first 2 shown]
	v_add_f16_e32 v36, v22, v35
	v_mul_f16_e32 v23, 0xbb47, v5
	v_sub_f16_e32 v22, v22, v35
	v_fma_f16 v35, v36, s14, v23
	v_mul_f16_e32 v41, 0x36a6, v40
	v_fma_f16 v23, v36, s14, -v23
	v_add_f16_e32 v35, v35, v43
	v_fma_f16 v43, v22, s15, v41
	v_add_f16_e32 v23, v23, v24
	v_fma_f16 v24, v22, s5, v41
	v_mul_f16_e32 v41, 0xba0c, v5
	v_add_f16_e32 v43, v43, v45
	v_add_f16_e32 v24, v24, v44
	v_fma_f16 v44, v36, s22, v41
	v_mul_f16_e32 v45, 0xb93d, v40
	v_fma_f16 v41, v36, s22, -v41
	v_add_f16_e32 v44, v44, v48
	v_fma_f16 v48, v22, s23, v45
	v_add_f16_e32 v41, v41, v46
	v_fma_f16 v45, v22, s21, v45
	v_mul_f16_e32 v46, 0x3482, v5
	v_add_f16_e32 v48, v48, v50
	v_add_f16_e32 v45, v45, v49
	;; [unrolled: 10-line block ×3, first 2 shown]
	v_fma_f16 v55, v36, s16, v53
	v_mul_f16_e32 v56, 0xb08e, v40
	v_fma_f16 v53, v36, s16, -v53
	v_mul_f16_e32 v5, 0x3853, v5
	v_add_f16_e32 v55, v55, v59
	v_fma_f16 v59, v22, s4, v56
	v_add_f16_e32 v53, v53, v58
	v_fma_f16 v56, v22, s20, v56
	v_fma_f16 v58, v36, s18, v5
	v_mul_f16_e32 v40, 0x3abb, v40
	v_fma_f16 v5, v36, s18, -v5
	v_add_f16_e32 v56, v56, v64
	v_fma_f16 v64, v22, s17, v40
	v_add_f16_e32 v4, v5, v4
	v_fma_f16 v5, v22, s19, v40
	v_add_f16_e32 v22, v6, v11
	v_sub_f16_e32 v6, v6, v11
	v_add_f16_e32 v5, v5, v21
	v_add_f16_e32 v21, v26, v34
	v_mul_f16_e32 v11, 0xbbeb, v6
	v_sub_f16_e32 v26, v26, v34
	v_fma_f16 v34, v21, s16, v11
	v_add_f16_e32 v34, v34, v35
	v_mul_f16_e32 v35, 0xb08e, v22
	v_fma_f16 v11, v21, s16, -v11
	v_add_f16_e32 v11, v11, v23
	v_fma_f16 v23, v26, s4, v35
	v_add_f16_e32 v23, v23, v24
	v_mul_f16_e32 v24, 0x3482, v6
	v_fma_f16 v36, v26, s20, v35
	v_fma_f16 v35, v21, s25, v24
	v_fma_f16 v24, v21, s25, -v24
	v_mul_f16_e32 v40, 0xbbad, v22
	v_add_f16_e32 v24, v24, v41
	v_mul_f16_e32 v41, 0x3b47, v6
	v_add_f16_e32 v36, v36, v43
	v_add_f16_e32 v35, v35, v44
	v_fma_f16 v43, v26, s24, v40
	v_fma_f16 v40, v26, s26, v40
	;; [unrolled: 1-line block ×3, first 2 shown]
	v_fma_f16 v41, v21, s14, -v41
	v_add_f16_e32 v40, v40, v45
	v_mul_f16_e32 v45, 0x36a6, v22
	v_add_f16_e32 v41, v41, v46
	v_mul_f16_e32 v46, 0xb853, v6
	v_add_f16_e32 v43, v43, v48
	v_add_f16_e32 v44, v44, v49
	v_fma_f16 v48, v26, s5, v45
	v_fma_f16 v45, v26, s15, v45
	;; [unrolled: 1-line block ×3, first 2 shown]
	v_fma_f16 v46, v21, s18, -v46
	v_mul_f16_e32 v6, 0xba0c, v6
	v_add_f16_e32 v45, v45, v50
	v_mul_f16_e32 v50, 0x3abb, v22
	v_add_f16_e32 v46, v46, v53
	v_fma_f16 v53, v21, s22, v6
	v_mul_f16_e32 v22, 0xb93d, v22
	v_fma_f16 v6, v21, s22, -v6
	v_add_f16_e32 v4, v6, v4
	v_fma_f16 v6, v26, s21, v22
	v_add_f16_e32 v21, v7, v10
	v_sub_f16_e32 v7, v7, v10
	v_add_f16_e32 v5, v6, v5
	v_add_f16_e32 v6, v28, v31
	v_mul_f16_e32 v10, 0xba0c, v7
	v_add_f16_e32 v48, v48, v54
	v_add_f16_e32 v49, v49, v55
	v_fma_f16 v54, v26, s19, v50
	v_fma_f16 v50, v26, s17, v50
	;; [unrolled: 1-line block ×3, first 2 shown]
	v_sub_f16_e32 v22, v28, v31
	v_fma_f16 v26, v6, s22, v10
	v_mul_f16_e32 v28, 0xb93d, v21
	v_fma_f16 v10, v6, s22, -v10
	v_add_f16_e32 v10, v10, v11
	v_fma_f16 v11, v22, s21, v28
	v_add_f16_e32 v11, v11, v23
	v_mul_f16_e32 v23, 0x3beb, v7
	v_add_f16_e32 v26, v26, v34
	v_fma_f16 v31, v22, s23, v28
	v_fma_f16 v28, v6, s16, v23
	v_mul_f16_e32 v34, 0xb08e, v21
	v_fma_f16 v23, v6, s16, -v23
	v_add_f16_e32 v24, v23, v24
	v_fma_f16 v23, v22, s20, v34
	v_add_f16_e32 v28, v28, v35
	v_fma_f16 v35, v22, s4, v34
	v_add_f16_e32 v34, v23, v40
	v_mul_f16_e32 v23, 0xb853, v7
	v_add_f16_e32 v31, v31, v36
	v_fma_f16 v36, v6, s18, v23
	v_mul_f16_e32 v40, 0x3abb, v21
	v_fma_f16 v23, v6, s18, -v23
	v_add_f16_e32 v41, v23, v41
	v_fma_f16 v23, v22, s17, v40
	v_add_f16_e32 v35, v35, v43
	v_fma_f16 v43, v22, s19, v40
	v_add_f16_e32 v40, v23, v45
	v_mul_f16_e32 v23, 0xb482, v7
	v_add_f16_e32 v36, v36, v44
	v_fma_f16 v44, v6, s25, v23
	v_mul_f16_e32 v45, 0xbbad, v21
	v_fma_f16 v23, v6, s25, -v23
	v_add_f16_e32 v50, v50, v56
	v_add_f16_e32 v46, v23, v46
	v_fma_f16 v23, v22, s24, v45
	v_mul_f16_e32 v7, 0x3b47, v7
	v_add_f16_e32 v58, v58, v66
	v_add_f16_e32 v43, v43, v48
	v_fma_f16 v48, v22, s26, v45
	v_add_f16_e32 v45, v23, v50
	v_fma_f16 v23, v6, s14, v7
	v_mul_f16_e32 v21, 0x36a6, v21
	v_fma_f16 v6, v6, s14, -v7
	v_add_f16_e32 v64, v64, v67
	v_add_f16_e32 v53, v53, v58
	;; [unrolled: 1-line block ×3, first 2 shown]
	v_fma_f16 v6, v22, s15, v21
	v_add_f16_e32 v7, v8, v9
	v_sub_f16_e32 v8, v8, v9
	v_add_f16_e32 v55, v55, v64
	v_add_f16_e32 v44, v44, v49
	;; [unrolled: 1-line block ×3, first 2 shown]
	v_fma_f16 v23, v22, s5, v21
	v_add_f16_e32 v5, v6, v5
	v_add_f16_e32 v6, v29, v30
	v_mul_f16_e32 v9, 0xb482, v8
	v_add_f16_e32 v50, v23, v55
	v_sub_f16_e32 v21, v29, v30
	v_fma_f16 v22, v6, s25, v9
	v_mul_f16_e32 v23, 0xbbad, v7
	v_add_f16_e32 v22, v22, v26
	v_fma_f16 v26, v21, s26, v23
	v_fma_f16 v9, v6, s25, -v9
	v_add_f16_e32 v29, v26, v31
	v_add_f16_e32 v26, v9, v10
	v_fma_f16 v9, v21, s24, v23
	v_add_f16_e32 v23, v9, v11
	v_mul_f16_e32 v9, 0x3853, v8
	v_fma_f16 v10, v6, s18, v9
	v_mul_f16_e32 v11, 0x3abb, v7
	v_fma_f16 v9, v6, s18, -v9
	v_add_f16_e32 v10, v10, v28
	v_fma_f16 v28, v21, s17, v11
	v_add_f16_e32 v9, v9, v24
	v_fma_f16 v11, v21, s19, v11
	v_mul_f16_e32 v24, 0xba0c, v8
	v_mul_f16_e32 v31, 0xb93d, v7
	v_add_f16_e32 v28, v28, v35
	v_add_f16_e32 v11, v11, v34
	v_fma_f16 v30, v6, s22, v24
	v_fma_f16 v34, v21, s23, v31
	;; [unrolled: 1-line block ×3, first 2 shown]
	v_mul_f16_e32 v35, 0x3b47, v8
	v_mul_f16_e32 v8, 0xbbeb, v8
	v_add_f16_e32 v30, v30, v36
	v_add_f16_e32 v34, v34, v43
	v_fma_f16 v24, v6, s22, -v24
	v_add_f16_e32 v31, v31, v40
	v_fma_f16 v36, v6, s14, v35
	v_mul_f16_e32 v40, 0x36a6, v7
	v_fma_f16 v35, v6, s14, -v35
	v_fma_f16 v43, v6, s16, v8
	v_mul_f16_e32 v7, 0xb08e, v7
	v_fma_f16 v6, v6, s16, -v8
	v_add_f16_e32 v59, v59, v65
	v_add_f16_e32 v24, v24, v41
	v_fma_f16 v41, v21, s5, v40
	v_fma_f16 v40, v21, s15, v40
	v_add_f16_e32 v4, v6, v4
	v_fma_f16 v6, v21, s4, v7
	v_add_f16_e32 v54, v54, v59
	v_add_f16_e32 v35, v35, v46
	;; [unrolled: 1-line block ×6, first 2 shown]
	v_fma_f16 v44, v21, s20, v7
	v_pack_b32_f16 v6, v37, v39
	v_pack_b32_f16 v7, v22, v29
	;; [unrolled: 1-line block ×4, first 2 shown]
	v_add_f16_e32 v41, v41, v48
	v_add_f16_e32 v43, v43, v49
	;; [unrolled: 1-line block ×3, first 2 shown]
	s_barrier
	ds_write2_b32 v51, v6, v7 offset1:17
	v_pack_b32_f16 v6, v10, v28
	v_pack_b32_f16 v7, v30, v34
	ds_write2_b32 v51, v4, v5 offset0:102 offset1:119
	v_pack_b32_f16 v4, v24, v31
	v_pack_b32_f16 v5, v9, v11
	ds_write2_b32 v51, v6, v7 offset0:34 offset1:51
	;; [unrolled: 3-line block ×3, first 2 shown]
	v_pack_b32_f16 v4, v26, v23
	v_add_u32_e32 v28, 0x200, v47
	ds_write2_b32 v51, v6, v7 offset0:68 offset1:85
	ds_write_b32 v51, v4 offset:680
	s_waitcnt lgkmcnt(0)
	s_barrier
	ds_read2_b32 v[4:5], v47 offset1:85
	ds_read2_b32 v[21:22], v28 offset0:59 offset1:144
	ds_read2_b32 v[10:11], v38 offset0:118 offset1:203
	;; [unrolled: 1-line block ×3, first 2 shown]
	v_add_u32_e32 v8, 0xa00, v47
	ds_read2_b32 v[8:9], v8 offset0:108 offset1:193
	v_add_u32_e32 v24, 0x154, v171
	s_and_saveexec_b64 s[4:5], s[2:3]
	s_cbranch_execz .LBB0_19
; %bb.18:
	ds_read2_b32 v[26:27], v28 offset0:42 offset1:229
	ds_read2_b32 v[32:33], v25 offset0:32 offset1:219
	ds_read_b32 v57, v47 offset:3672
	s_waitcnt lgkmcnt(2)
	v_lshrrev_b32_e32 v23, 16, v26
	v_lshrrev_b32_e32 v62, 16, v27
	s_waitcnt lgkmcnt(1)
	v_lshrrev_b32_e32 v63, 16, v32
	v_lshrrev_b32_e32 v61, 16, v33
	s_waitcnt lgkmcnt(0)
	v_lshrrev_b32_e32 v60, 16, v57
.LBB0_19:
	s_or_b64 exec, exec, s[4:5]
	s_waitcnt lgkmcnt(3)
	v_lshrrev_b32_e32 v28, 16, v21
	v_mul_f16_sdwa v39, v12, v28 dst_sel:DWORD dst_unused:UNUSED_PAD src0_sel:WORD_1 src1_sel:DWORD
	s_waitcnt lgkmcnt(2)
	v_lshrrev_b32_e32 v29, 16, v10
	v_fma_f16 v39, v12, v21, v39
	v_mul_f16_sdwa v21, v12, v21 dst_sel:DWORD dst_unused:UNUSED_PAD src0_sel:WORD_1 src1_sel:DWORD
	v_fma_f16 v12, v12, v28, -v21
	v_mul_f16_sdwa v21, v13, v29 dst_sel:DWORD dst_unused:UNUSED_PAD src0_sel:WORD_1 src1_sel:DWORD
	s_waitcnt lgkmcnt(1)
	v_lshrrev_b32_e32 v30, 16, v6
	v_fma_f16 v21, v13, v10, v21
	v_mul_f16_sdwa v10, v13, v10 dst_sel:DWORD dst_unused:UNUSED_PAD src0_sel:WORD_1 src1_sel:DWORD
	v_fma_f16 v10, v13, v29, -v10
	;; [unrolled: 6-line block ×3, first 2 shown]
	v_mul_f16_sdwa v14, v15, v31 dst_sel:DWORD dst_unused:UNUSED_PAD src0_sel:WORD_1 src1_sel:DWORD
	v_lshrrev_b32_e32 v35, 16, v22
	v_fma_f16 v14, v15, v8, v14
	v_mul_f16_sdwa v8, v15, v8 dst_sel:DWORD dst_unused:UNUSED_PAD src0_sel:WORD_1 src1_sel:DWORD
	v_fma_f16 v8, v15, v31, -v8
	v_mul_f16_sdwa v15, v16, v35 dst_sel:DWORD dst_unused:UNUSED_PAD src0_sel:WORD_1 src1_sel:DWORD
	v_lshrrev_b32_e32 v36, 16, v11
	v_fma_f16 v15, v16, v22, v15
	v_mul_f16_sdwa v22, v16, v22 dst_sel:DWORD dst_unused:UNUSED_PAD src0_sel:WORD_1 src1_sel:DWORD
	v_fma_f16 v16, v16, v35, -v22
	v_mul_f16_sdwa v22, v17, v36 dst_sel:DWORD dst_unused:UNUSED_PAD src0_sel:WORD_1 src1_sel:DWORD
	v_lshrrev_b32_e32 v37, 16, v7
	v_fma_f16 v22, v17, v11, v22
	v_mul_f16_sdwa v11, v17, v11 dst_sel:DWORD dst_unused:UNUSED_PAD src0_sel:WORD_1 src1_sel:DWORD
	v_fma_f16 v11, v17, v36, -v11
	v_mul_f16_sdwa v17, v18, v37 dst_sel:DWORD dst_unused:UNUSED_PAD src0_sel:WORD_1 src1_sel:DWORD
	v_add_f16_e32 v28, v21, v13
	v_lshrrev_b32_e32 v38, 16, v9
	v_fma_f16 v17, v18, v7, v17
	v_mul_f16_sdwa v7, v18, v7 dst_sel:DWORD dst_unused:UNUSED_PAD src0_sel:WORD_1 src1_sel:DWORD
	v_fma_f16 v28, v28, -0.5, v4
	v_sub_f16_e32 v29, v12, v8
	s_mov_b32 s14, 0xbb9c
	s_movk_i32 s17, 0x3b9c
	v_fma_f16 v7, v18, v37, -v7
	v_mul_f16_sdwa v18, v19, v38 dst_sel:DWORD dst_unused:UNUSED_PAD src0_sel:WORD_1 src1_sel:DWORD
	v_fma_f16 v30, v29, s14, v28
	v_sub_f16_e32 v31, v10, v6
	s_mov_b32 s15, 0xb8b4
	v_sub_f16_e32 v35, v39, v21
	v_sub_f16_e32 v36, v14, v13
	v_fma_f16 v28, v29, s17, v28
	s_movk_i32 s18, 0x38b4
	v_fma_f16 v18, v19, v9, v18
	v_mul_f16_sdwa v9, v19, v9 dst_sel:DWORD dst_unused:UNUSED_PAD src0_sel:WORD_1 src1_sel:DWORD
	v_fma_f16 v30, v31, s15, v30
	v_add_f16_e32 v35, v35, v36
	s_movk_i32 s16, 0x34f2
	v_fma_f16 v28, v31, s18, v28
	v_fma_f16 v9, v19, v38, -v9
	v_add_f16_e32 v19, v4, v39
	v_fma_f16 v30, v35, s16, v30
	v_fma_f16 v28, v35, s16, v28
	v_add_f16_e32 v35, v39, v14
	v_lshrrev_b32_e32 v25, 16, v4
	v_add_f16_e32 v19, v19, v21
	v_fma_f16 v4, v35, -0.5, v4
	v_add_f16_e32 v19, v19, v13
	v_fma_f16 v35, v31, s17, v4
	v_sub_f16_e32 v36, v21, v39
	v_sub_f16_e32 v37, v13, v14
	v_fma_f16 v4, v31, s14, v4
	v_add_f16_e32 v31, v10, v6
	v_add_f16_e32 v19, v19, v14
	v_fma_f16 v35, v29, s15, v35
	v_add_f16_e32 v36, v36, v37
	v_fma_f16 v4, v29, s18, v4
	v_fma_f16 v31, v31, -0.5, v25
	v_sub_f16_e32 v14, v39, v14
	v_fma_f16 v35, v36, s16, v35
	v_fma_f16 v4, v36, s16, v4
	;; [unrolled: 1-line block ×3, first 2 shown]
	v_sub_f16_e32 v13, v21, v13
	v_fma_f16 v21, v13, s18, v36
	v_sub_f16_e32 v36, v12, v10
	v_sub_f16_e32 v37, v8, v6
	v_fma_f16 v31, v14, s14, v31
	v_add_f16_e32 v36, v36, v37
	v_fma_f16 v31, v13, s15, v31
	v_add_f16_e32 v29, v25, v12
	v_fma_f16 v21, v36, s16, v21
	v_fma_f16 v31, v36, s16, v31
	v_add_f16_e32 v36, v12, v8
	v_add_f16_e32 v29, v29, v10
	v_fma_f16 v25, v36, -0.5, v25
	v_add_f16_e32 v29, v29, v6
	v_fma_f16 v36, v13, s14, v25
	v_sub_f16_e32 v10, v10, v12
	v_sub_f16_e32 v6, v6, v8
	v_add_f16_e32 v12, v22, v17
	v_fma_f16 v36, v14, s18, v36
	v_add_f16_e32 v6, v10, v6
	v_fma_f16 v10, v13, s17, v25
	v_fma_f16 v12, v12, -0.5, v5
	v_sub_f16_e32 v13, v16, v9
	v_add_f16_e32 v29, v29, v8
	v_fma_f16 v8, v6, s16, v36
	v_fma_f16 v10, v14, s15, v10
	;; [unrolled: 1-line block ×3, first 2 shown]
	v_sub_f16_e32 v25, v11, v7
	v_sub_f16_e32 v36, v15, v22
	;; [unrolled: 1-line block ×3, first 2 shown]
	v_fma_f16 v12, v13, s17, v12
	v_fma_f16 v14, v25, s15, v14
	v_add_f16_e32 v36, v36, v37
	v_fma_f16 v12, v25, s18, v12
	v_fma_f16 v14, v36, s16, v14
	;; [unrolled: 1-line block ×3, first 2 shown]
	v_add_f16_e32 v36, v15, v18
	v_lshrrev_b32_e32 v34, 16, v5
	v_fma_f16 v6, v6, s16, v10
	v_add_f16_e32 v10, v5, v15
	v_fma_f16 v5, v36, -0.5, v5
	v_add_f16_e32 v10, v10, v22
	v_fma_f16 v36, v25, s17, v5
	v_sub_f16_e32 v37, v22, v15
	v_sub_f16_e32 v38, v17, v18
	v_fma_f16 v5, v25, s14, v5
	v_add_f16_e32 v25, v11, v7
	v_add_f16_e32 v10, v10, v17
	v_fma_f16 v36, v13, s15, v36
	v_add_f16_e32 v37, v37, v38
	v_fma_f16 v5, v13, s18, v5
	v_fma_f16 v25, v25, -0.5, v34
	v_sub_f16_e32 v15, v15, v18
	v_add_f16_e32 v10, v10, v18
	v_fma_f16 v36, v37, s16, v36
	v_fma_f16 v5, v37, s16, v5
	;; [unrolled: 1-line block ×3, first 2 shown]
	v_sub_f16_e32 v17, v22, v17
	v_sub_f16_e32 v22, v16, v11
	;; [unrolled: 1-line block ×3, first 2 shown]
	v_fma_f16 v25, v15, s14, v25
	v_add_f16_e32 v13, v34, v16
	v_fma_f16 v18, v17, s18, v18
	v_add_f16_e32 v22, v22, v37
	;; [unrolled: 2-line block ×3, first 2 shown]
	v_fma_f16 v18, v22, s16, v18
	v_fma_f16 v22, v22, s16, v25
	v_add_f16_e32 v25, v16, v9
	v_add_f16_e32 v13, v13, v7
	v_fma_f16 v25, v25, -0.5, v34
	v_sub_f16_e32 v11, v11, v16
	v_sub_f16_e32 v7, v7, v9
	v_fma_f16 v34, v17, s14, v25
	v_add_f16_e32 v7, v11, v7
	v_fma_f16 v11, v17, s17, v25
	v_fma_f16 v34, v15, s18, v34
	;; [unrolled: 1-line block ×3, first 2 shown]
	v_pack_b32_f16 v15, v30, v21
	v_pack_b32_f16 v8, v35, v8
	v_add_u32_e32 v16, 0x200, v52
	v_add_f16_e32 v13, v13, v9
	ds_write2_b32 v16, v15, v8 offset0:59 offset1:246
	v_pack_b32_f16 v4, v4, v6
	v_pack_b32_f16 v6, v28, v31
	v_add_u32_e32 v8, 0x800, v52
	v_fma_f16 v9, v7, s16, v34
	v_fma_f16 v7, v7, s16, v11
	v_pack_b32_f16 v11, v19, v29
	ds_write2_b32 v8, v4, v6 offset0:49 offset1:236
	v_pack_b32_f16 v4, v10, v13
	ds_write2_b32 v52, v11, v4 offset1:85
	v_pack_b32_f16 v4, v14, v18
	v_pack_b32_f16 v6, v36, v9
	v_add_u32_e32 v8, 0x200, v24
	ds_write2_b32 v8, v4, v6 offset0:59 offset1:246
	v_pack_b32_f16 v4, v5, v7
	v_pack_b32_f16 v5, v12, v22
	v_add_u32_e32 v6, 0x800, v24
	ds_write2_b32 v6, v4, v5 offset0:49 offset1:236
	v_lshl_add_u32 v4, v229, 2, v245
	s_and_saveexec_b64 s[4:5], s[2:3]
	s_cbranch_execz .LBB0_21
; %bb.20:
	v_mul_f16_sdwa v5, v1, v32 dst_sel:DWORD dst_unused:UNUSED_PAD src0_sel:WORD_1 src1_sel:DWORD
	v_mul_f16_sdwa v6, v0, v27 dst_sel:DWORD dst_unused:UNUSED_PAD src0_sel:WORD_1 src1_sel:DWORD
	;; [unrolled: 1-line block ×4, first 2 shown]
	v_fma_f16 v5, v1, v63, -v5
	v_fma_f16 v6, v0, v62, -v6
	;; [unrolled: 1-line block ×4, first 2 shown]
	v_sub_f16_e32 v7, v5, v6
	v_sub_f16_e32 v10, v8, v9
	v_add_f16_e32 v7, v7, v10
	v_mul_f16_sdwa v10, v1, v63 dst_sel:DWORD dst_unused:UNUSED_PAD src0_sel:WORD_1 src1_sel:DWORD
	v_fma_f16 v1, v1, v32, v10
	v_mul_f16_sdwa v10, v2, v61 dst_sel:DWORD dst_unused:UNUSED_PAD src0_sel:WORD_1 src1_sel:DWORD
	v_mul_f16_sdwa v13, v0, v62 dst_sel:DWORD dst_unused:UNUSED_PAD src0_sel:WORD_1 src1_sel:DWORD
	v_fma_f16 v2, v2, v33, v10
	v_add_f16_e32 v11, v6, v9
	v_fma_f16 v0, v0, v27, v13
	v_mul_f16_sdwa v13, v3, v60 dst_sel:DWORD dst_unused:UNUSED_PAD src0_sel:WORD_1 src1_sel:DWORD
	v_sub_f16_e32 v10, v1, v2
	v_fma_f16 v11, v11, -0.5, v23
	v_fma_f16 v3, v3, v57, v13
	v_fma_f16 v12, v10, s17, v11
	v_sub_f16_e32 v13, v0, v3
	v_fma_f16 v11, v10, s14, v11
	v_fma_f16 v12, v13, s15, v12
	;; [unrolled: 1-line block ×5, first 2 shown]
	v_sub_f16_e32 v11, v6, v5
	v_sub_f16_e32 v14, v9, v8
	v_add_f16_e32 v11, v11, v14
	v_add_f16_e32 v14, v5, v8
	v_fma_f16 v14, v14, -0.5, v23
	v_fma_f16 v15, v13, s14, v14
	v_fma_f16 v13, v13, s17, v14
	;; [unrolled: 1-line block ×6, first 2 shown]
	v_add_f16_e32 v11, v23, v6
	v_add_f16_e32 v11, v11, v5
	;; [unrolled: 1-line block ×4, first 2 shown]
	v_sub_f16_e32 v6, v6, v9
	v_add_f16_e32 v9, v0, v3
	v_fma_f16 v9, v9, -0.5, v26
	v_sub_f16_e32 v5, v5, v8
	v_sub_f16_e32 v13, v1, v0
	;; [unrolled: 1-line block ×3, first 2 shown]
	v_fma_f16 v8, v5, s14, v9
	v_fma_f16 v9, v5, s17, v9
	v_add_f16_e32 v13, v13, v14
	v_fma_f16 v8, v6, s18, v8
	v_fma_f16 v9, v6, s15, v9
	v_fma_f16 v8, v13, s16, v8
	v_fma_f16 v9, v13, s16, v9
	v_sub_f16_e32 v13, v0, v1
	v_sub_f16_e32 v14, v3, v2
	v_add_f16_e32 v13, v13, v14
	v_add_f16_e32 v14, v1, v2
	v_fma_f16 v14, v14, -0.5, v26
	v_add_f16_e32 v0, v26, v0
	v_fma_f16 v16, v6, s17, v14
	v_fma_f16 v6, v6, s14, v14
	v_add_f16_e32 v0, v0, v1
	v_fma_f16 v16, v5, s18, v16
	v_fma_f16 v5, v5, s15, v6
	v_add_f16_e32 v0, v0, v2
	v_fma_f16 v5, v13, s16, v5
	v_add_f16_e32 v0, v0, v3
	v_pack_b32_f16 v0, v0, v11
	v_pack_b32_f16 v1, v5, v10
	v_add_u32_e32 v2, 0x200, v4
	v_fma_f16 v16, v13, s16, v16
	ds_write2_b32 v2, v0, v1 offset0:42 offset1:229
	v_pack_b32_f16 v0, v9, v7
	v_pack_b32_f16 v1, v8, v12
	v_add_u32_e32 v2, 0x800, v4
	ds_write2_b32 v2, v0, v1 offset0:32 offset1:219
	v_pack_b32_f16 v0, v16, v15
	ds_write_b32 v4, v0 offset:3672
.LBB0_21:
	s_or_b64 exec, exec, s[4:5]
	s_waitcnt lgkmcnt(0)
	s_barrier
	s_and_b64 exec, exec, s[0:1]
	s_cbranch_execz .LBB0_23
; %bb.22:
	global_load_dword v9, v245, s[6:7]
	v_mad_u64_u32 v[5:6], s[0:1], s8, v228, 0
	v_mad_u64_u32 v[1:2], s[0:1], s10, v20, 0
	ds_read_b32 v10, v52
	v_mov_b32_e32 v3, v6
	v_mad_u64_u32 v[6:7], s[0:1], s11, v20, v[2:3]
	v_mad_u64_u32 v[7:8], s[0:1], s9, v228, v[3:4]
	s_waitcnt lgkmcnt(0)
	v_lshrrev_b32_e32 v8, 16, v10
	v_mov_b32_e32 v2, v6
	v_mov_b32_e32 v6, v7
	s_mov_b32 s14, 0xfa401186
	v_lshlrev_b64 v[1:2], 2, v[1:2]
	s_mov_b32 s15, 0x3f5185e2
	v_mov_b32_e32 v3, s13
	v_add_co_u32_e32 v11, vcc, s12, v1
	v_addc_co_u32_e32 v3, vcc, v3, v2, vcc
	v_lshlrev_b64 v[5:6], 2, v[5:6]
	s_movk_i32 s16, 0x1ff
	v_add_co_u32_e32 v5, vcc, v11, v5
	v_addc_co_u32_e32 v6, vcc, v3, v6, vcc
	s_movk_i32 s10, 0xffe
	v_mov_b32_e32 v0, 0x7c00
	s_movk_i32 s18, 0x40f
	s_mov_b32 s17, 0x8000
	s_waitcnt vmcnt(0)
	v_mul_f16_sdwa v7, v8, v9 dst_sel:DWORD dst_unused:UNUSED_PAD src0_sel:DWORD src1_sel:WORD_1
	v_fma_f16 v7, v10, v9, v7
	v_mul_f16_sdwa v10, v10, v9 dst_sel:DWORD dst_unused:UNUSED_PAD src0_sel:DWORD src1_sel:WORD_1
	v_cvt_f32_f16_e32 v7, v7
	v_fma_f16 v8, v9, v8, -v10
	v_cvt_f32_f16_e32 v9, v8
	v_cvt_f64_f32_e32 v[7:8], v7
	v_cvt_f64_f32_e32 v[9:10], v9
	v_mul_f64 v[7:8], v[7:8], s[14:15]
	v_mul_f64 v[1:2], v[9:10], s[14:15]
	v_and_or_b32 v3, v8, s16, v7
	v_cmp_ne_u32_e32 vcc, 0, v3
	v_and_or_b32 v1, v2, s16, v1
	v_lshrrev_b32_e32 v7, 8, v8
	v_bfe_u32 v9, v8, 20, 11
	v_cndmask_b32_e64 v3, 0, 1, vcc
	v_cmp_ne_u32_e32 vcc, 0, v1
	v_lshrrev_b32_e32 v10, 8, v2
	v_bfe_u32 v11, v2, 20, 11
	v_sub_u32_e32 v12, 0x3f1, v9
	v_cndmask_b32_e64 v1, 0, 1, vcc
	v_and_or_b32 v3, v7, s10, v3
	v_sub_u32_e32 v13, 0x3f1, v11
	v_med3_i32 v7, v12, 0, 13
	v_and_or_b32 v1, v10, s10, v1
	v_or_b32_e32 v12, 0x1000, v3
	v_add_u32_e32 v9, 0xfffffc10, v9
	v_med3_i32 v10, v13, 0, 13
	v_cmp_ne_u32_e32 vcc, 0, v3
	v_or_b32_e32 v14, 0x1000, v1
	v_lshrrev_b32_e32 v16, v7, v12
	v_add_u32_e32 v11, 0xfffffc10, v11
	v_lshl_or_b32 v13, v9, 12, v3
	v_cndmask_b32_e64 v3, 0, 1, vcc
	v_cmp_ne_u32_e32 vcc, 0, v1
	v_lshrrev_b32_e32 v17, v10, v14
	v_lshlrev_b32_e32 v7, v7, v16
	v_lshl_or_b32 v15, v11, 12, v1
	v_cndmask_b32_e64 v1, 0, 1, vcc
	v_lshlrev_b32_e32 v10, v10, v17
	v_cmp_ne_u32_e32 vcc, v7, v12
	v_cndmask_b32_e64 v7, 0, 1, vcc
	v_cmp_ne_u32_e32 vcc, v10, v14
	v_cndmask_b32_e64 v10, 0, 1, vcc
	v_or_b32_e32 v7, v16, v7
	v_cmp_gt_i32_e32 vcc, 1, v9
	v_cndmask_b32_e32 v7, v13, v7, vcc
	v_or_b32_e32 v10, v17, v10
	v_cmp_gt_i32_e32 vcc, 1, v11
	v_and_b32_e32 v12, 7, v7
	v_cndmask_b32_e32 v10, v15, v10, vcc
	v_cmp_lt_i32_e32 vcc, 5, v12
	v_cmp_eq_u32_e64 s[0:1], 3, v12
	v_lshrrev_b32_e32 v7, 2, v7
	v_and_b32_e32 v13, 7, v10
	s_or_b64 vcc, s[0:1], vcc
	v_cmp_lt_i32_e64 s[2:3], 5, v13
	v_cmp_eq_u32_e64 s[4:5], 3, v13
	v_addc_co_u32_e32 v7, vcc, 0, v7, vcc
	v_lshrrev_b32_e32 v10, 2, v10
	s_or_b64 vcc, s[4:5], s[2:3]
	v_addc_co_u32_e32 v10, vcc, 0, v10, vcc
	v_cmp_gt_i32_e32 vcc, 31, v9
	v_cndmask_b32_e32 v7, v0, v7, vcc
	v_cmp_gt_i32_e32 vcc, 31, v11
	v_lshl_or_b32 v3, v3, 9, v0
	v_cndmask_b32_e32 v10, v0, v10, vcc
	v_cmp_eq_u32_e32 vcc, s18, v9
	v_lshrrev_b32_e32 v8, 16, v8
	v_lshl_or_b32 v1, v1, 9, v0
	v_cndmask_b32_e32 v3, v7, v3, vcc
	v_cmp_eq_u32_e32 vcc, s18, v11
	v_lshrrev_b32_e32 v2, 16, v2
	v_cndmask_b32_e32 v1, v10, v1, vcc
	v_and_or_b32 v3, v8, s17, v3
	v_and_or_b32 v1, v2, s17, v1
	v_and_b32_e32 v2, 0xffff, v3
	v_lshl_or_b32 v1, v1, 16, v2
	global_store_dword v[5:6], v1, off
	global_load_dword v3, v245, s[6:7] offset:220
	ds_read2_b32 v[1:2], v4 offset0:55 offset1:110
	s_mul_i32 s0, s9, 0xdc
	s_mul_hi_u32 s9, s8, 0xdc
	s_mulk_i32 s8, 0xdc
	s_add_i32 s9, s9, s0
	s_waitcnt lgkmcnt(0)
	v_lshrrev_b32_e32 v7, 16, v1
	v_add_co_u32_e32 v5, vcc, s8, v5
	s_waitcnt vmcnt(0)
	v_mul_f16_sdwa v8, v7, v3 dst_sel:DWORD dst_unused:UNUSED_PAD src0_sel:DWORD src1_sel:WORD_1
	v_fma_f16 v8, v1, v3, v8
	v_mul_f16_sdwa v1, v1, v3 dst_sel:DWORD dst_unused:UNUSED_PAD src0_sel:DWORD src1_sel:WORD_1
	v_cvt_f32_f16_e32 v8, v8
	v_fma_f16 v1, v3, v7, -v1
	v_cvt_f32_f16_e32 v1, v1
	v_cvt_f64_f32_e32 v[7:8], v8
	v_cvt_f64_f32_e32 v[9:10], v1
	v_mov_b32_e32 v1, s9
	v_mul_f64 v[7:8], v[7:8], s[14:15]
	v_addc_co_u32_e32 v6, vcc, v6, v1, vcc
	v_mul_f64 v[9:10], v[9:10], s[14:15]
	v_and_or_b32 v1, v8, s16, v7
	v_cmp_ne_u32_e32 vcc, 0, v1
	v_lshrrev_b32_e32 v3, 8, v8
	v_and_or_b32 v9, v10, s16, v9
	v_bfe_u32 v7, v8, 20, 11
	v_cndmask_b32_e64 v1, 0, 1, vcc
	v_cmp_ne_u32_e32 vcc, 0, v9
	v_lshrrev_b32_e32 v11, 8, v10
	v_bfe_u32 v12, v10, 20, 11
	v_sub_u32_e32 v13, 0x3f1, v7
	v_cndmask_b32_e64 v9, 0, 1, vcc
	v_and_or_b32 v1, v3, s10, v1
	v_sub_u32_e32 v14, 0x3f1, v12
	v_med3_i32 v3, v13, 0, 13
	v_and_or_b32 v9, v11, s10, v9
	v_or_b32_e32 v13, 0x1000, v1
	v_add_u32_e32 v7, 0xfffffc10, v7
	v_med3_i32 v11, v14, 0, 13
	v_cmp_ne_u32_e32 vcc, 0, v1
	v_or_b32_e32 v15, 0x1000, v9
	v_lshrrev_b32_e32 v17, v3, v13
	v_add_u32_e32 v12, 0xfffffc10, v12
	v_lshl_or_b32 v14, v7, 12, v1
	v_cndmask_b32_e64 v1, 0, 1, vcc
	v_cmp_ne_u32_e32 vcc, 0, v9
	v_lshrrev_b32_e32 v18, v11, v15
	v_lshlrev_b32_e32 v3, v3, v17
	v_lshl_or_b32 v16, v12, 12, v9
	v_cndmask_b32_e64 v9, 0, 1, vcc
	v_lshlrev_b32_e32 v11, v11, v18
	v_cmp_ne_u32_e32 vcc, v3, v13
	v_cndmask_b32_e64 v3, 0, 1, vcc
	v_cmp_ne_u32_e32 vcc, v11, v15
	v_cndmask_b32_e64 v11, 0, 1, vcc
	v_or_b32_e32 v3, v17, v3
	v_cmp_gt_i32_e32 vcc, 1, v7
	v_cndmask_b32_e32 v3, v14, v3, vcc
	v_or_b32_e32 v11, v18, v11
	v_cmp_gt_i32_e32 vcc, 1, v12
	v_and_b32_e32 v13, 7, v3
	v_cndmask_b32_e32 v11, v16, v11, vcc
	v_cmp_lt_i32_e32 vcc, 5, v13
	v_cmp_eq_u32_e64 s[0:1], 3, v13
	v_lshrrev_b32_e32 v3, 2, v3
	v_and_b32_e32 v14, 7, v11
	s_or_b64 vcc, s[0:1], vcc
	v_cmp_lt_i32_e64 s[2:3], 5, v14
	v_cmp_eq_u32_e64 s[4:5], 3, v14
	v_addc_co_u32_e32 v3, vcc, 0, v3, vcc
	v_lshrrev_b32_e32 v11, 2, v11
	s_or_b64 vcc, s[4:5], s[2:3]
	v_addc_co_u32_e32 v11, vcc, 0, v11, vcc
	v_cmp_gt_i32_e32 vcc, 31, v7
	v_cndmask_b32_e32 v3, v0, v3, vcc
	v_cmp_gt_i32_e32 vcc, 31, v12
	v_lshl_or_b32 v1, v1, 9, v0
	v_cndmask_b32_e32 v11, v0, v11, vcc
	v_cmp_eq_u32_e32 vcc, s18, v7
	v_lshrrev_b32_e32 v8, 16, v8
	v_lshl_or_b32 v9, v9, 9, v0
	v_cndmask_b32_e32 v1, v3, v1, vcc
	v_cmp_eq_u32_e32 vcc, s18, v12
	v_lshrrev_b32_e32 v10, 16, v10
	v_cndmask_b32_e32 v3, v11, v9, vcc
	v_and_or_b32 v1, v8, s17, v1
	v_and_or_b32 v3, v10, s17, v3
	v_and_b32_e32 v1, 0xffff, v1
	v_lshl_or_b32 v1, v3, 16, v1
	global_store_dword v[5:6], v1, off
	global_load_dword v1, v245, s[6:7] offset:440
	v_lshrrev_b32_e32 v3, 16, v2
	v_add_co_u32_e32 v5, vcc, s8, v5
	s_waitcnt vmcnt(0)
	v_mul_f16_sdwa v7, v3, v1 dst_sel:DWORD dst_unused:UNUSED_PAD src0_sel:DWORD src1_sel:WORD_1
	v_fma_f16 v7, v2, v1, v7
	v_mul_f16_sdwa v2, v2, v1 dst_sel:DWORD dst_unused:UNUSED_PAD src0_sel:DWORD src1_sel:WORD_1
	v_cvt_f32_f16_e32 v7, v7
	v_fma_f16 v1, v1, v3, -v2
	v_cvt_f32_f16_e32 v3, v1
	v_cvt_f64_f32_e32 v[1:2], v7
	v_cvt_f64_f32_e32 v[7:8], v3
	v_mov_b32_e32 v3, s9
	v_mul_f64 v[1:2], v[1:2], s[14:15]
	v_addc_co_u32_e32 v6, vcc, v6, v3, vcc
	v_mul_f64 v[7:8], v[7:8], s[14:15]
	v_and_or_b32 v1, v2, s16, v1
	v_cmp_ne_u32_e32 vcc, 0, v1
	v_lshrrev_b32_e32 v3, 8, v2
	v_and_or_b32 v7, v8, s16, v7
	v_bfe_u32 v9, v2, 20, 11
	v_cndmask_b32_e64 v1, 0, 1, vcc
	v_cmp_ne_u32_e32 vcc, 0, v7
	v_lshrrev_b32_e32 v10, 8, v8
	v_bfe_u32 v11, v8, 20, 11
	v_sub_u32_e32 v12, 0x3f1, v9
	v_cndmask_b32_e64 v7, 0, 1, vcc
	v_and_or_b32 v1, v3, s10, v1
	v_sub_u32_e32 v13, 0x3f1, v11
	v_med3_i32 v3, v12, 0, 13
	v_and_or_b32 v7, v10, s10, v7
	v_or_b32_e32 v12, 0x1000, v1
	v_add_u32_e32 v9, 0xfffffc10, v9
	v_med3_i32 v10, v13, 0, 13
	v_cmp_ne_u32_e32 vcc, 0, v1
	v_or_b32_e32 v14, 0x1000, v7
	v_lshrrev_b32_e32 v16, v3, v12
	v_add_u32_e32 v11, 0xfffffc10, v11
	v_lshl_or_b32 v13, v9, 12, v1
	v_cndmask_b32_e64 v1, 0, 1, vcc
	v_cmp_ne_u32_e32 vcc, 0, v7
	v_lshrrev_b32_e32 v17, v10, v14
	v_lshlrev_b32_e32 v3, v3, v16
	v_lshl_or_b32 v15, v11, 12, v7
	v_cndmask_b32_e64 v7, 0, 1, vcc
	v_lshlrev_b32_e32 v10, v10, v17
	v_cmp_ne_u32_e32 vcc, v3, v12
	v_cndmask_b32_e64 v3, 0, 1, vcc
	v_cmp_ne_u32_e32 vcc, v10, v14
	v_cndmask_b32_e64 v10, 0, 1, vcc
	v_or_b32_e32 v3, v16, v3
	v_cmp_gt_i32_e32 vcc, 1, v9
	v_cndmask_b32_e32 v3, v13, v3, vcc
	v_or_b32_e32 v10, v17, v10
	v_cmp_gt_i32_e32 vcc, 1, v11
	v_and_b32_e32 v12, 7, v3
	v_cndmask_b32_e32 v10, v15, v10, vcc
	v_cmp_lt_i32_e32 vcc, 5, v12
	v_cmp_eq_u32_e64 s[0:1], 3, v12
	v_lshrrev_b32_e32 v3, 2, v3
	v_and_b32_e32 v13, 7, v10
	s_or_b64 vcc, s[0:1], vcc
	v_cmp_lt_i32_e64 s[2:3], 5, v13
	v_cmp_eq_u32_e64 s[4:5], 3, v13
	v_addc_co_u32_e32 v3, vcc, 0, v3, vcc
	v_lshrrev_b32_e32 v10, 2, v10
	s_or_b64 vcc, s[4:5], s[2:3]
	v_addc_co_u32_e32 v10, vcc, 0, v10, vcc
	v_cmp_gt_i32_e32 vcc, 31, v9
	v_cndmask_b32_e32 v3, v0, v3, vcc
	v_cmp_gt_i32_e32 vcc, 31, v11
	v_lshl_or_b32 v1, v1, 9, v0
	v_cndmask_b32_e32 v10, v0, v10, vcc
	v_cmp_eq_u32_e32 vcc, s18, v9
	v_lshrrev_b32_e32 v2, 16, v2
	v_lshl_or_b32 v7, v7, 9, v0
	v_cndmask_b32_e32 v1, v3, v1, vcc
	v_cmp_eq_u32_e32 vcc, s18, v11
	v_lshrrev_b32_e32 v8, 16, v8
	v_cndmask_b32_e32 v3, v10, v7, vcc
	v_and_or_b32 v1, v2, s17, v1
	v_and_or_b32 v2, v8, s17, v3
	v_and_b32_e32 v1, 0xffff, v1
	v_lshl_or_b32 v1, v2, 16, v1
	global_store_dword v[5:6], v1, off
	global_load_dword v3, v245, s[6:7] offset:660
	ds_read2_b32 v[1:2], v4 offset0:165 offset1:220
	v_add_co_u32_e32 v5, vcc, s8, v5
	s_waitcnt lgkmcnt(0)
	v_lshrrev_b32_e32 v7, 16, v1
	s_waitcnt vmcnt(0)
	v_mul_f16_sdwa v8, v7, v3 dst_sel:DWORD dst_unused:UNUSED_PAD src0_sel:DWORD src1_sel:WORD_1
	v_fma_f16 v8, v1, v3, v8
	v_mul_f16_sdwa v1, v1, v3 dst_sel:DWORD dst_unused:UNUSED_PAD src0_sel:DWORD src1_sel:WORD_1
	v_cvt_f32_f16_e32 v8, v8
	v_fma_f16 v1, v3, v7, -v1
	v_cvt_f32_f16_e32 v1, v1
	v_cvt_f64_f32_e32 v[7:8], v8
	v_cvt_f64_f32_e32 v[9:10], v1
	v_mov_b32_e32 v1, s9
	v_mul_f64 v[7:8], v[7:8], s[14:15]
	v_addc_co_u32_e32 v6, vcc, v6, v1, vcc
	v_mul_f64 v[9:10], v[9:10], s[14:15]
	v_and_or_b32 v1, v8, s16, v7
	v_cmp_ne_u32_e32 vcc, 0, v1
	v_lshrrev_b32_e32 v3, 8, v8
	v_and_or_b32 v9, v10, s16, v9
	v_bfe_u32 v7, v8, 20, 11
	v_cndmask_b32_e64 v1, 0, 1, vcc
	v_cmp_ne_u32_e32 vcc, 0, v9
	v_lshrrev_b32_e32 v11, 8, v10
	v_bfe_u32 v12, v10, 20, 11
	v_sub_u32_e32 v13, 0x3f1, v7
	v_cndmask_b32_e64 v9, 0, 1, vcc
	v_and_or_b32 v1, v3, s10, v1
	v_sub_u32_e32 v14, 0x3f1, v12
	v_med3_i32 v3, v13, 0, 13
	v_and_or_b32 v9, v11, s10, v9
	v_or_b32_e32 v13, 0x1000, v1
	v_add_u32_e32 v7, 0xfffffc10, v7
	v_med3_i32 v11, v14, 0, 13
	v_cmp_ne_u32_e32 vcc, 0, v1
	v_or_b32_e32 v15, 0x1000, v9
	v_lshrrev_b32_e32 v17, v3, v13
	v_add_u32_e32 v12, 0xfffffc10, v12
	v_lshl_or_b32 v14, v7, 12, v1
	v_cndmask_b32_e64 v1, 0, 1, vcc
	v_cmp_ne_u32_e32 vcc, 0, v9
	v_lshrrev_b32_e32 v18, v11, v15
	v_lshlrev_b32_e32 v3, v3, v17
	v_lshl_or_b32 v16, v12, 12, v9
	v_cndmask_b32_e64 v9, 0, 1, vcc
	v_lshlrev_b32_e32 v11, v11, v18
	v_cmp_ne_u32_e32 vcc, v3, v13
	v_cndmask_b32_e64 v3, 0, 1, vcc
	v_cmp_ne_u32_e32 vcc, v11, v15
	v_cndmask_b32_e64 v11, 0, 1, vcc
	v_or_b32_e32 v3, v17, v3
	v_cmp_gt_i32_e32 vcc, 1, v7
	v_cndmask_b32_e32 v3, v14, v3, vcc
	v_or_b32_e32 v11, v18, v11
	v_cmp_gt_i32_e32 vcc, 1, v12
	v_and_b32_e32 v13, 7, v3
	v_cndmask_b32_e32 v11, v16, v11, vcc
	v_cmp_lt_i32_e32 vcc, 5, v13
	v_cmp_eq_u32_e64 s[0:1], 3, v13
	v_lshrrev_b32_e32 v3, 2, v3
	v_and_b32_e32 v14, 7, v11
	s_or_b64 vcc, s[0:1], vcc
	v_cmp_lt_i32_e64 s[2:3], 5, v14
	v_cmp_eq_u32_e64 s[4:5], 3, v14
	v_addc_co_u32_e32 v3, vcc, 0, v3, vcc
	v_lshrrev_b32_e32 v11, 2, v11
	s_or_b64 vcc, s[4:5], s[2:3]
	v_addc_co_u32_e32 v11, vcc, 0, v11, vcc
	v_cmp_gt_i32_e32 vcc, 31, v7
	v_cndmask_b32_e32 v3, v0, v3, vcc
	v_cmp_gt_i32_e32 vcc, 31, v12
	v_lshl_or_b32 v1, v1, 9, v0
	v_cndmask_b32_e32 v11, v0, v11, vcc
	v_cmp_eq_u32_e32 vcc, s18, v7
	v_lshrrev_b32_e32 v8, 16, v8
	v_lshl_or_b32 v9, v9, 9, v0
	v_cndmask_b32_e32 v1, v3, v1, vcc
	v_cmp_eq_u32_e32 vcc, s18, v12
	v_lshrrev_b32_e32 v10, 16, v10
	v_cndmask_b32_e32 v3, v11, v9, vcc
	v_and_or_b32 v1, v8, s17, v1
	v_and_or_b32 v3, v10, s17, v3
	v_and_b32_e32 v1, 0xffff, v1
	v_lshl_or_b32 v1, v3, 16, v1
	global_store_dword v[5:6], v1, off
	global_load_dword v1, v245, s[6:7] offset:880
	v_lshrrev_b32_e32 v3, 16, v2
	v_add_co_u32_e32 v5, vcc, s8, v5
	s_waitcnt vmcnt(0)
	v_mul_f16_sdwa v7, v3, v1 dst_sel:DWORD dst_unused:UNUSED_PAD src0_sel:DWORD src1_sel:WORD_1
	v_fma_f16 v7, v2, v1, v7
	v_mul_f16_sdwa v2, v2, v1 dst_sel:DWORD dst_unused:UNUSED_PAD src0_sel:DWORD src1_sel:WORD_1
	v_cvt_f32_f16_e32 v7, v7
	v_fma_f16 v1, v1, v3, -v2
	v_cvt_f32_f16_e32 v3, v1
	v_cvt_f64_f32_e32 v[1:2], v7
	v_cvt_f64_f32_e32 v[7:8], v3
	v_mov_b32_e32 v3, s9
	v_mul_f64 v[1:2], v[1:2], s[14:15]
	v_addc_co_u32_e32 v6, vcc, v6, v3, vcc
	v_mul_f64 v[7:8], v[7:8], s[14:15]
	v_and_or_b32 v1, v2, s16, v1
	v_cmp_ne_u32_e32 vcc, 0, v1
	v_lshrrev_b32_e32 v3, 8, v2
	v_and_or_b32 v7, v8, s16, v7
	v_bfe_u32 v9, v2, 20, 11
	v_cndmask_b32_e64 v1, 0, 1, vcc
	v_cmp_ne_u32_e32 vcc, 0, v7
	v_lshrrev_b32_e32 v10, 8, v8
	v_bfe_u32 v11, v8, 20, 11
	v_sub_u32_e32 v12, 0x3f1, v9
	v_cndmask_b32_e64 v7, 0, 1, vcc
	v_and_or_b32 v1, v3, s10, v1
	v_sub_u32_e32 v13, 0x3f1, v11
	v_med3_i32 v3, v12, 0, 13
	v_and_or_b32 v7, v10, s10, v7
	v_or_b32_e32 v12, 0x1000, v1
	v_add_u32_e32 v9, 0xfffffc10, v9
	v_med3_i32 v10, v13, 0, 13
	v_cmp_ne_u32_e32 vcc, 0, v1
	v_or_b32_e32 v14, 0x1000, v7
	v_lshrrev_b32_e32 v16, v3, v12
	v_add_u32_e32 v11, 0xfffffc10, v11
	v_lshl_or_b32 v13, v9, 12, v1
	v_cndmask_b32_e64 v1, 0, 1, vcc
	v_cmp_ne_u32_e32 vcc, 0, v7
	v_lshrrev_b32_e32 v17, v10, v14
	v_lshlrev_b32_e32 v3, v3, v16
	v_lshl_or_b32 v15, v11, 12, v7
	v_cndmask_b32_e64 v7, 0, 1, vcc
	v_lshlrev_b32_e32 v10, v10, v17
	v_cmp_ne_u32_e32 vcc, v3, v12
	v_cndmask_b32_e64 v3, 0, 1, vcc
	v_cmp_ne_u32_e32 vcc, v10, v14
	v_cndmask_b32_e64 v10, 0, 1, vcc
	v_or_b32_e32 v3, v16, v3
	v_cmp_gt_i32_e32 vcc, 1, v9
	v_cndmask_b32_e32 v3, v13, v3, vcc
	v_or_b32_e32 v10, v17, v10
	v_cmp_gt_i32_e32 vcc, 1, v11
	v_and_b32_e32 v12, 7, v3
	v_cndmask_b32_e32 v10, v15, v10, vcc
	v_cmp_lt_i32_e32 vcc, 5, v12
	v_cmp_eq_u32_e64 s[0:1], 3, v12
	v_lshrrev_b32_e32 v3, 2, v3
	v_and_b32_e32 v13, 7, v10
	s_or_b64 vcc, s[0:1], vcc
	v_cmp_lt_i32_e64 s[2:3], 5, v13
	v_cmp_eq_u32_e64 s[4:5], 3, v13
	v_addc_co_u32_e32 v3, vcc, 0, v3, vcc
	v_lshrrev_b32_e32 v10, 2, v10
	s_or_b64 vcc, s[4:5], s[2:3]
	v_addc_co_u32_e32 v10, vcc, 0, v10, vcc
	v_cmp_gt_i32_e32 vcc, 31, v9
	v_cndmask_b32_e32 v3, v0, v3, vcc
	v_cmp_gt_i32_e32 vcc, 31, v11
	v_lshl_or_b32 v1, v1, 9, v0
	v_cndmask_b32_e32 v10, v0, v10, vcc
	v_cmp_eq_u32_e32 vcc, s18, v9
	v_lshrrev_b32_e32 v2, 16, v2
	v_lshl_or_b32 v7, v7, 9, v0
	v_cndmask_b32_e32 v1, v3, v1, vcc
	v_cmp_eq_u32_e32 vcc, s18, v11
	v_lshrrev_b32_e32 v8, 16, v8
	v_cndmask_b32_e32 v3, v10, v7, vcc
	v_and_or_b32 v1, v2, s17, v1
	v_and_or_b32 v2, v8, s17, v3
	v_and_b32_e32 v1, 0xffff, v1
	v_lshl_or_b32 v1, v2, 16, v1
	global_store_dword v[5:6], v1, off
	global_load_dword v3, v245, s[6:7] offset:1100
	v_add_u32_e32 v11, 0x400, v4
	ds_read2_b32 v[1:2], v11 offset0:19 offset1:74
	v_add_co_u32_e32 v5, vcc, s8, v5
	s_waitcnt lgkmcnt(0)
	v_lshrrev_b32_e32 v7, 16, v1
	s_waitcnt vmcnt(0)
	v_mul_f16_sdwa v8, v7, v3 dst_sel:DWORD dst_unused:UNUSED_PAD src0_sel:DWORD src1_sel:WORD_1
	v_fma_f16 v8, v1, v3, v8
	v_mul_f16_sdwa v1, v1, v3 dst_sel:DWORD dst_unused:UNUSED_PAD src0_sel:DWORD src1_sel:WORD_1
	v_cvt_f32_f16_e32 v8, v8
	v_fma_f16 v1, v3, v7, -v1
	v_cvt_f32_f16_e32 v1, v1
	v_cvt_f64_f32_e32 v[7:8], v8
	v_cvt_f64_f32_e32 v[9:10], v1
	v_mov_b32_e32 v1, s9
	v_mul_f64 v[7:8], v[7:8], s[14:15]
	v_addc_co_u32_e32 v6, vcc, v6, v1, vcc
	v_mul_f64 v[9:10], v[9:10], s[14:15]
	v_and_or_b32 v1, v8, s16, v7
	v_cmp_ne_u32_e32 vcc, 0, v1
	v_lshrrev_b32_e32 v3, 8, v8
	v_and_or_b32 v9, v10, s16, v9
	v_bfe_u32 v7, v8, 20, 11
	v_cndmask_b32_e64 v1, 0, 1, vcc
	v_cmp_ne_u32_e32 vcc, 0, v9
	v_lshrrev_b32_e32 v12, 8, v10
	v_bfe_u32 v13, v10, 20, 11
	v_sub_u32_e32 v14, 0x3f1, v7
	v_cndmask_b32_e64 v9, 0, 1, vcc
	v_and_or_b32 v1, v3, s10, v1
	v_sub_u32_e32 v15, 0x3f1, v13
	v_med3_i32 v3, v14, 0, 13
	v_and_or_b32 v9, v12, s10, v9
	v_or_b32_e32 v14, 0x1000, v1
	v_add_u32_e32 v7, 0xfffffc10, v7
	v_med3_i32 v12, v15, 0, 13
	v_cmp_ne_u32_e32 vcc, 0, v1
	v_or_b32_e32 v16, 0x1000, v9
	v_lshrrev_b32_e32 v18, v3, v14
	v_add_u32_e32 v13, 0xfffffc10, v13
	v_lshl_or_b32 v15, v7, 12, v1
	v_cndmask_b32_e64 v1, 0, 1, vcc
	v_cmp_ne_u32_e32 vcc, 0, v9
	v_lshrrev_b32_e32 v19, v12, v16
	v_lshlrev_b32_e32 v3, v3, v18
	v_lshl_or_b32 v17, v13, 12, v9
	v_cndmask_b32_e64 v9, 0, 1, vcc
	v_lshlrev_b32_e32 v12, v12, v19
	v_cmp_ne_u32_e32 vcc, v3, v14
	v_cndmask_b32_e64 v3, 0, 1, vcc
	v_cmp_ne_u32_e32 vcc, v12, v16
	v_cndmask_b32_e64 v12, 0, 1, vcc
	v_or_b32_e32 v3, v18, v3
	v_cmp_gt_i32_e32 vcc, 1, v7
	v_cndmask_b32_e32 v3, v15, v3, vcc
	v_or_b32_e32 v12, v19, v12
	v_cmp_gt_i32_e32 vcc, 1, v13
	v_and_b32_e32 v14, 7, v3
	v_cndmask_b32_e32 v12, v17, v12, vcc
	v_cmp_lt_i32_e32 vcc, 5, v14
	v_cmp_eq_u32_e64 s[0:1], 3, v14
	v_lshrrev_b32_e32 v3, 2, v3
	v_and_b32_e32 v15, 7, v12
	s_or_b64 vcc, s[0:1], vcc
	v_cmp_lt_i32_e64 s[2:3], 5, v15
	v_cmp_eq_u32_e64 s[4:5], 3, v15
	v_addc_co_u32_e32 v3, vcc, 0, v3, vcc
	v_lshrrev_b32_e32 v12, 2, v12
	s_or_b64 vcc, s[4:5], s[2:3]
	v_addc_co_u32_e32 v12, vcc, 0, v12, vcc
	v_cmp_gt_i32_e32 vcc, 31, v7
	v_cndmask_b32_e32 v3, v0, v3, vcc
	v_cmp_gt_i32_e32 vcc, 31, v13
	v_lshl_or_b32 v1, v1, 9, v0
	v_cndmask_b32_e32 v12, v0, v12, vcc
	v_cmp_eq_u32_e32 vcc, s18, v7
	v_lshrrev_b32_e32 v8, 16, v8
	v_lshl_or_b32 v9, v9, 9, v0
	v_cndmask_b32_e32 v1, v3, v1, vcc
	v_cmp_eq_u32_e32 vcc, s18, v13
	v_lshrrev_b32_e32 v10, 16, v10
	v_cndmask_b32_e32 v3, v12, v9, vcc
	v_and_or_b32 v1, v8, s17, v1
	v_and_or_b32 v3, v10, s17, v3
	v_and_b32_e32 v1, 0xffff, v1
	v_lshl_or_b32 v1, v3, 16, v1
	global_store_dword v[5:6], v1, off
	global_load_dword v1, v245, s[6:7] offset:1320
	v_lshrrev_b32_e32 v3, 16, v2
	v_add_co_u32_e32 v5, vcc, s8, v5
	s_waitcnt vmcnt(0)
	v_mul_f16_sdwa v7, v3, v1 dst_sel:DWORD dst_unused:UNUSED_PAD src0_sel:DWORD src1_sel:WORD_1
	v_fma_f16 v7, v2, v1, v7
	v_mul_f16_sdwa v2, v2, v1 dst_sel:DWORD dst_unused:UNUSED_PAD src0_sel:DWORD src1_sel:WORD_1
	v_cvt_f32_f16_e32 v7, v7
	v_fma_f16 v1, v1, v3, -v2
	v_cvt_f32_f16_e32 v3, v1
	v_cvt_f64_f32_e32 v[1:2], v7
	v_cvt_f64_f32_e32 v[7:8], v3
	v_mov_b32_e32 v3, s9
	v_mul_f64 v[1:2], v[1:2], s[14:15]
	v_addc_co_u32_e32 v6, vcc, v6, v3, vcc
	v_mul_f64 v[7:8], v[7:8], s[14:15]
	v_and_or_b32 v1, v2, s16, v1
	v_cmp_ne_u32_e32 vcc, 0, v1
	v_lshrrev_b32_e32 v3, 8, v2
	v_and_or_b32 v7, v8, s16, v7
	v_bfe_u32 v9, v2, 20, 11
	v_cndmask_b32_e64 v1, 0, 1, vcc
	v_cmp_ne_u32_e32 vcc, 0, v7
	v_lshrrev_b32_e32 v10, 8, v8
	v_bfe_u32 v12, v8, 20, 11
	v_sub_u32_e32 v13, 0x3f1, v9
	v_cndmask_b32_e64 v7, 0, 1, vcc
	v_and_or_b32 v1, v3, s10, v1
	v_sub_u32_e32 v14, 0x3f1, v12
	v_med3_i32 v3, v13, 0, 13
	v_and_or_b32 v7, v10, s10, v7
	v_or_b32_e32 v13, 0x1000, v1
	v_add_u32_e32 v9, 0xfffffc10, v9
	v_med3_i32 v10, v14, 0, 13
	v_cmp_ne_u32_e32 vcc, 0, v1
	v_or_b32_e32 v15, 0x1000, v7
	v_lshrrev_b32_e32 v17, v3, v13
	v_add_u32_e32 v12, 0xfffffc10, v12
	v_lshl_or_b32 v14, v9, 12, v1
	v_cndmask_b32_e64 v1, 0, 1, vcc
	v_cmp_ne_u32_e32 vcc, 0, v7
	v_lshrrev_b32_e32 v18, v10, v15
	v_lshlrev_b32_e32 v3, v3, v17
	v_lshl_or_b32 v16, v12, 12, v7
	v_cndmask_b32_e64 v7, 0, 1, vcc
	v_lshlrev_b32_e32 v10, v10, v18
	v_cmp_ne_u32_e32 vcc, v3, v13
	v_cndmask_b32_e64 v3, 0, 1, vcc
	v_cmp_ne_u32_e32 vcc, v10, v15
	v_cndmask_b32_e64 v10, 0, 1, vcc
	v_or_b32_e32 v3, v17, v3
	v_cmp_gt_i32_e32 vcc, 1, v9
	v_cndmask_b32_e32 v3, v14, v3, vcc
	v_or_b32_e32 v10, v18, v10
	v_cmp_gt_i32_e32 vcc, 1, v12
	v_and_b32_e32 v13, 7, v3
	v_cndmask_b32_e32 v10, v16, v10, vcc
	v_cmp_lt_i32_e32 vcc, 5, v13
	v_cmp_eq_u32_e64 s[0:1], 3, v13
	v_lshrrev_b32_e32 v3, 2, v3
	v_and_b32_e32 v14, 7, v10
	s_or_b64 vcc, s[0:1], vcc
	v_cmp_lt_i32_e64 s[2:3], 5, v14
	v_cmp_eq_u32_e64 s[4:5], 3, v14
	v_addc_co_u32_e32 v3, vcc, 0, v3, vcc
	v_lshrrev_b32_e32 v10, 2, v10
	s_or_b64 vcc, s[4:5], s[2:3]
	v_addc_co_u32_e32 v10, vcc, 0, v10, vcc
	v_cmp_gt_i32_e32 vcc, 31, v9
	v_cndmask_b32_e32 v3, v0, v3, vcc
	v_cmp_gt_i32_e32 vcc, 31, v12
	v_lshl_or_b32 v1, v1, 9, v0
	v_cndmask_b32_e32 v10, v0, v10, vcc
	v_cmp_eq_u32_e32 vcc, s18, v9
	v_lshrrev_b32_e32 v2, 16, v2
	v_lshl_or_b32 v7, v7, 9, v0
	v_cndmask_b32_e32 v1, v3, v1, vcc
	v_cmp_eq_u32_e32 vcc, s18, v12
	v_lshrrev_b32_e32 v8, 16, v8
	v_cndmask_b32_e32 v3, v10, v7, vcc
	v_and_or_b32 v1, v2, s17, v1
	v_and_or_b32 v2, v8, s17, v3
	v_and_b32_e32 v1, 0xffff, v1
	v_lshl_or_b32 v1, v2, 16, v1
	global_store_dword v[5:6], v1, off
	global_load_dword v3, v245, s[6:7] offset:1540
	ds_read2_b32 v[1:2], v11 offset0:129 offset1:184
	v_add_co_u32_e32 v5, vcc, s8, v5
	s_waitcnt lgkmcnt(0)
	v_lshrrev_b32_e32 v7, 16, v1
	s_waitcnt vmcnt(0)
	v_mul_f16_sdwa v8, v7, v3 dst_sel:DWORD dst_unused:UNUSED_PAD src0_sel:DWORD src1_sel:WORD_1
	v_fma_f16 v8, v1, v3, v8
	v_mul_f16_sdwa v1, v1, v3 dst_sel:DWORD dst_unused:UNUSED_PAD src0_sel:DWORD src1_sel:WORD_1
	v_cvt_f32_f16_e32 v8, v8
	v_fma_f16 v1, v3, v7, -v1
	v_cvt_f32_f16_e32 v1, v1
	v_cvt_f64_f32_e32 v[7:8], v8
	v_cvt_f64_f32_e32 v[9:10], v1
	v_mov_b32_e32 v1, s9
	v_mul_f64 v[7:8], v[7:8], s[14:15]
	v_addc_co_u32_e32 v6, vcc, v6, v1, vcc
	v_mul_f64 v[9:10], v[9:10], s[14:15]
	v_and_or_b32 v1, v8, s16, v7
	v_cmp_ne_u32_e32 vcc, 0, v1
	v_lshrrev_b32_e32 v3, 8, v8
	v_and_or_b32 v9, v10, s16, v9
	v_bfe_u32 v7, v8, 20, 11
	v_cndmask_b32_e64 v1, 0, 1, vcc
	v_cmp_ne_u32_e32 vcc, 0, v9
	v_lshrrev_b32_e32 v11, 8, v10
	v_bfe_u32 v12, v10, 20, 11
	v_sub_u32_e32 v13, 0x3f1, v7
	v_cndmask_b32_e64 v9, 0, 1, vcc
	v_and_or_b32 v1, v3, s10, v1
	v_sub_u32_e32 v14, 0x3f1, v12
	v_med3_i32 v3, v13, 0, 13
	v_and_or_b32 v9, v11, s10, v9
	v_or_b32_e32 v13, 0x1000, v1
	v_add_u32_e32 v7, 0xfffffc10, v7
	v_med3_i32 v11, v14, 0, 13
	v_cmp_ne_u32_e32 vcc, 0, v1
	v_or_b32_e32 v15, 0x1000, v9
	v_lshrrev_b32_e32 v17, v3, v13
	v_add_u32_e32 v12, 0xfffffc10, v12
	v_lshl_or_b32 v14, v7, 12, v1
	v_cndmask_b32_e64 v1, 0, 1, vcc
	v_cmp_ne_u32_e32 vcc, 0, v9
	v_lshrrev_b32_e32 v18, v11, v15
	v_lshlrev_b32_e32 v3, v3, v17
	v_lshl_or_b32 v16, v12, 12, v9
	v_cndmask_b32_e64 v9, 0, 1, vcc
	v_lshlrev_b32_e32 v11, v11, v18
	v_cmp_ne_u32_e32 vcc, v3, v13
	v_cndmask_b32_e64 v3, 0, 1, vcc
	v_cmp_ne_u32_e32 vcc, v11, v15
	v_cndmask_b32_e64 v11, 0, 1, vcc
	v_or_b32_e32 v3, v17, v3
	v_cmp_gt_i32_e32 vcc, 1, v7
	v_cndmask_b32_e32 v3, v14, v3, vcc
	v_or_b32_e32 v11, v18, v11
	v_cmp_gt_i32_e32 vcc, 1, v12
	v_and_b32_e32 v13, 7, v3
	v_cndmask_b32_e32 v11, v16, v11, vcc
	v_cmp_lt_i32_e32 vcc, 5, v13
	v_cmp_eq_u32_e64 s[0:1], 3, v13
	v_lshrrev_b32_e32 v3, 2, v3
	v_and_b32_e32 v14, 7, v11
	s_or_b64 vcc, s[0:1], vcc
	v_cmp_lt_i32_e64 s[2:3], 5, v14
	v_cmp_eq_u32_e64 s[4:5], 3, v14
	v_addc_co_u32_e32 v3, vcc, 0, v3, vcc
	v_lshrrev_b32_e32 v11, 2, v11
	s_or_b64 vcc, s[4:5], s[2:3]
	v_addc_co_u32_e32 v11, vcc, 0, v11, vcc
	v_cmp_gt_i32_e32 vcc, 31, v7
	v_cndmask_b32_e32 v3, v0, v3, vcc
	v_cmp_gt_i32_e32 vcc, 31, v12
	v_lshl_or_b32 v1, v1, 9, v0
	v_cndmask_b32_e32 v11, v0, v11, vcc
	v_cmp_eq_u32_e32 vcc, s18, v7
	v_lshrrev_b32_e32 v8, 16, v8
	v_lshl_or_b32 v9, v9, 9, v0
	v_cndmask_b32_e32 v1, v3, v1, vcc
	v_cmp_eq_u32_e32 vcc, s18, v12
	v_lshrrev_b32_e32 v10, 16, v10
	v_cndmask_b32_e32 v3, v11, v9, vcc
	v_and_or_b32 v1, v8, s17, v1
	v_and_or_b32 v3, v10, s17, v3
	v_and_b32_e32 v1, 0xffff, v1
	v_lshl_or_b32 v1, v3, 16, v1
	global_store_dword v[5:6], v1, off
	global_load_dword v1, v245, s[6:7] offset:1760
	v_lshrrev_b32_e32 v3, 16, v2
	v_add_co_u32_e32 v5, vcc, s8, v5
	s_waitcnt vmcnt(0)
	v_mul_f16_sdwa v7, v3, v1 dst_sel:DWORD dst_unused:UNUSED_PAD src0_sel:DWORD src1_sel:WORD_1
	v_fma_f16 v7, v2, v1, v7
	v_mul_f16_sdwa v2, v2, v1 dst_sel:DWORD dst_unused:UNUSED_PAD src0_sel:DWORD src1_sel:WORD_1
	v_cvt_f32_f16_e32 v7, v7
	v_fma_f16 v1, v1, v3, -v2
	v_cvt_f32_f16_e32 v3, v1
	v_cvt_f64_f32_e32 v[1:2], v7
	v_cvt_f64_f32_e32 v[7:8], v3
	v_mov_b32_e32 v3, s9
	v_mul_f64 v[1:2], v[1:2], s[14:15]
	v_addc_co_u32_e32 v6, vcc, v6, v3, vcc
	v_mul_f64 v[7:8], v[7:8], s[14:15]
	v_and_or_b32 v1, v2, s16, v1
	v_cmp_ne_u32_e32 vcc, 0, v1
	v_lshrrev_b32_e32 v3, 8, v2
	v_and_or_b32 v7, v8, s16, v7
	v_bfe_u32 v9, v2, 20, 11
	v_cndmask_b32_e64 v1, 0, 1, vcc
	v_cmp_ne_u32_e32 vcc, 0, v7
	v_lshrrev_b32_e32 v10, 8, v8
	v_bfe_u32 v11, v8, 20, 11
	v_sub_u32_e32 v12, 0x3f1, v9
	v_cndmask_b32_e64 v7, 0, 1, vcc
	v_and_or_b32 v1, v3, s10, v1
	v_sub_u32_e32 v13, 0x3f1, v11
	v_med3_i32 v3, v12, 0, 13
	v_and_or_b32 v7, v10, s10, v7
	v_or_b32_e32 v12, 0x1000, v1
	v_add_u32_e32 v9, 0xfffffc10, v9
	v_med3_i32 v10, v13, 0, 13
	v_cmp_ne_u32_e32 vcc, 0, v1
	v_or_b32_e32 v14, 0x1000, v7
	v_lshrrev_b32_e32 v16, v3, v12
	v_add_u32_e32 v11, 0xfffffc10, v11
	v_lshl_or_b32 v13, v9, 12, v1
	v_cndmask_b32_e64 v1, 0, 1, vcc
	v_cmp_ne_u32_e32 vcc, 0, v7
	v_lshrrev_b32_e32 v17, v10, v14
	v_lshlrev_b32_e32 v3, v3, v16
	v_lshl_or_b32 v15, v11, 12, v7
	v_cndmask_b32_e64 v7, 0, 1, vcc
	v_lshlrev_b32_e32 v10, v10, v17
	v_cmp_ne_u32_e32 vcc, v3, v12
	v_cndmask_b32_e64 v3, 0, 1, vcc
	v_cmp_ne_u32_e32 vcc, v10, v14
	v_cndmask_b32_e64 v10, 0, 1, vcc
	v_or_b32_e32 v3, v16, v3
	v_cmp_gt_i32_e32 vcc, 1, v9
	v_cndmask_b32_e32 v3, v13, v3, vcc
	v_or_b32_e32 v10, v17, v10
	v_cmp_gt_i32_e32 vcc, 1, v11
	v_and_b32_e32 v12, 7, v3
	v_cndmask_b32_e32 v10, v15, v10, vcc
	v_cmp_lt_i32_e32 vcc, 5, v12
	v_cmp_eq_u32_e64 s[0:1], 3, v12
	v_lshrrev_b32_e32 v3, 2, v3
	v_and_b32_e32 v13, 7, v10
	s_or_b64 vcc, s[0:1], vcc
	v_cmp_lt_i32_e64 s[2:3], 5, v13
	v_cmp_eq_u32_e64 s[4:5], 3, v13
	v_addc_co_u32_e32 v3, vcc, 0, v3, vcc
	v_lshrrev_b32_e32 v10, 2, v10
	s_or_b64 vcc, s[4:5], s[2:3]
	v_addc_co_u32_e32 v10, vcc, 0, v10, vcc
	v_cmp_gt_i32_e32 vcc, 31, v9
	v_cndmask_b32_e32 v3, v0, v3, vcc
	v_cmp_gt_i32_e32 vcc, 31, v11
	v_lshl_or_b32 v1, v1, 9, v0
	v_cndmask_b32_e32 v10, v0, v10, vcc
	v_cmp_eq_u32_e32 vcc, s18, v9
	v_lshrrev_b32_e32 v2, 16, v2
	v_lshl_or_b32 v7, v7, 9, v0
	v_cndmask_b32_e32 v1, v3, v1, vcc
	v_cmp_eq_u32_e32 vcc, s18, v11
	v_lshrrev_b32_e32 v8, 16, v8
	v_cndmask_b32_e32 v3, v10, v7, vcc
	v_and_or_b32 v1, v2, s17, v1
	v_and_or_b32 v2, v8, s17, v3
	v_and_b32_e32 v1, 0xffff, v1
	v_lshl_or_b32 v1, v2, 16, v1
	global_store_dword v[5:6], v1, off
	global_load_dword v3, v245, s[6:7] offset:1980
	v_add_u32_e32 v1, 0x600, v4
	ds_read2_b32 v[1:2], v1 offset0:111 offset1:166
	v_add_co_u32_e32 v5, vcc, s8, v5
	s_waitcnt lgkmcnt(0)
	v_lshrrev_b32_e32 v7, 16, v1
	s_waitcnt vmcnt(0)
	v_mul_f16_sdwa v8, v7, v3 dst_sel:DWORD dst_unused:UNUSED_PAD src0_sel:DWORD src1_sel:WORD_1
	v_fma_f16 v8, v1, v3, v8
	v_mul_f16_sdwa v1, v1, v3 dst_sel:DWORD dst_unused:UNUSED_PAD src0_sel:DWORD src1_sel:WORD_1
	v_cvt_f32_f16_e32 v8, v8
	v_fma_f16 v1, v3, v7, -v1
	v_cvt_f32_f16_e32 v1, v1
	v_cvt_f64_f32_e32 v[7:8], v8
	v_cvt_f64_f32_e32 v[9:10], v1
	v_mov_b32_e32 v1, s9
	v_mul_f64 v[7:8], v[7:8], s[14:15]
	v_addc_co_u32_e32 v6, vcc, v6, v1, vcc
	v_mul_f64 v[9:10], v[9:10], s[14:15]
	v_and_or_b32 v1, v8, s16, v7
	v_cmp_ne_u32_e32 vcc, 0, v1
	v_lshrrev_b32_e32 v3, 8, v8
	v_and_or_b32 v9, v10, s16, v9
	v_bfe_u32 v7, v8, 20, 11
	v_cndmask_b32_e64 v1, 0, 1, vcc
	v_cmp_ne_u32_e32 vcc, 0, v9
	v_lshrrev_b32_e32 v11, 8, v10
	v_bfe_u32 v12, v10, 20, 11
	v_sub_u32_e32 v13, 0x3f1, v7
	v_cndmask_b32_e64 v9, 0, 1, vcc
	v_and_or_b32 v1, v3, s10, v1
	v_sub_u32_e32 v14, 0x3f1, v12
	v_med3_i32 v3, v13, 0, 13
	v_and_or_b32 v9, v11, s10, v9
	v_or_b32_e32 v13, 0x1000, v1
	v_add_u32_e32 v7, 0xfffffc10, v7
	v_med3_i32 v11, v14, 0, 13
	v_cmp_ne_u32_e32 vcc, 0, v1
	v_or_b32_e32 v15, 0x1000, v9
	v_lshrrev_b32_e32 v17, v3, v13
	v_add_u32_e32 v12, 0xfffffc10, v12
	v_lshl_or_b32 v14, v7, 12, v1
	v_cndmask_b32_e64 v1, 0, 1, vcc
	v_cmp_ne_u32_e32 vcc, 0, v9
	v_lshrrev_b32_e32 v18, v11, v15
	v_lshlrev_b32_e32 v3, v3, v17
	v_lshl_or_b32 v16, v12, 12, v9
	v_cndmask_b32_e64 v9, 0, 1, vcc
	v_lshlrev_b32_e32 v11, v11, v18
	v_cmp_ne_u32_e32 vcc, v3, v13
	v_cndmask_b32_e64 v3, 0, 1, vcc
	v_cmp_ne_u32_e32 vcc, v11, v15
	v_cndmask_b32_e64 v11, 0, 1, vcc
	v_or_b32_e32 v3, v17, v3
	v_cmp_gt_i32_e32 vcc, 1, v7
	v_cndmask_b32_e32 v3, v14, v3, vcc
	v_or_b32_e32 v11, v18, v11
	v_cmp_gt_i32_e32 vcc, 1, v12
	v_and_b32_e32 v13, 7, v3
	v_cndmask_b32_e32 v11, v16, v11, vcc
	v_cmp_lt_i32_e32 vcc, 5, v13
	v_cmp_eq_u32_e64 s[0:1], 3, v13
	v_lshrrev_b32_e32 v3, 2, v3
	v_and_b32_e32 v14, 7, v11
	s_or_b64 vcc, s[0:1], vcc
	v_cmp_lt_i32_e64 s[2:3], 5, v14
	v_cmp_eq_u32_e64 s[4:5], 3, v14
	v_addc_co_u32_e32 v3, vcc, 0, v3, vcc
	v_lshrrev_b32_e32 v11, 2, v11
	s_or_b64 vcc, s[4:5], s[2:3]
	v_addc_co_u32_e32 v11, vcc, 0, v11, vcc
	v_cmp_gt_i32_e32 vcc, 31, v7
	v_cndmask_b32_e32 v3, v0, v3, vcc
	v_cmp_gt_i32_e32 vcc, 31, v12
	v_lshl_or_b32 v1, v1, 9, v0
	v_cndmask_b32_e32 v11, v0, v11, vcc
	v_cmp_eq_u32_e32 vcc, s18, v7
	v_lshrrev_b32_e32 v8, 16, v8
	v_lshl_or_b32 v9, v9, 9, v0
	v_cndmask_b32_e32 v1, v3, v1, vcc
	v_cmp_eq_u32_e32 vcc, s18, v12
	v_lshrrev_b32_e32 v10, 16, v10
	v_cndmask_b32_e32 v3, v11, v9, vcc
	v_and_or_b32 v1, v8, s17, v1
	v_and_or_b32 v3, v10, s17, v3
	v_and_b32_e32 v1, 0xffff, v1
	v_lshl_or_b32 v1, v3, 16, v1
	global_store_dword v[5:6], v1, off
	global_load_dword v1, v245, s[6:7] offset:2200
	v_lshrrev_b32_e32 v3, 16, v2
	v_add_co_u32_e32 v5, vcc, s8, v5
	s_waitcnt vmcnt(0)
	v_mul_f16_sdwa v7, v3, v1 dst_sel:DWORD dst_unused:UNUSED_PAD src0_sel:DWORD src1_sel:WORD_1
	v_fma_f16 v7, v2, v1, v7
	v_mul_f16_sdwa v2, v2, v1 dst_sel:DWORD dst_unused:UNUSED_PAD src0_sel:DWORD src1_sel:WORD_1
	v_cvt_f32_f16_e32 v7, v7
	v_fma_f16 v1, v1, v3, -v2
	v_cvt_f32_f16_e32 v3, v1
	v_cvt_f64_f32_e32 v[1:2], v7
	v_cvt_f64_f32_e32 v[7:8], v3
	v_mov_b32_e32 v3, s9
	v_mul_f64 v[1:2], v[1:2], s[14:15]
	v_addc_co_u32_e32 v6, vcc, v6, v3, vcc
	v_mul_f64 v[7:8], v[7:8], s[14:15]
	v_and_or_b32 v1, v2, s16, v1
	v_cmp_ne_u32_e32 vcc, 0, v1
	v_lshrrev_b32_e32 v3, 8, v2
	v_and_or_b32 v7, v8, s16, v7
	v_bfe_u32 v9, v2, 20, 11
	v_cndmask_b32_e64 v1, 0, 1, vcc
	v_cmp_ne_u32_e32 vcc, 0, v7
	v_lshrrev_b32_e32 v10, 8, v8
	v_bfe_u32 v11, v8, 20, 11
	v_sub_u32_e32 v12, 0x3f1, v9
	v_cndmask_b32_e64 v7, 0, 1, vcc
	v_and_or_b32 v1, v3, s10, v1
	v_sub_u32_e32 v13, 0x3f1, v11
	v_med3_i32 v3, v12, 0, 13
	v_and_or_b32 v7, v10, s10, v7
	v_or_b32_e32 v12, 0x1000, v1
	v_add_u32_e32 v9, 0xfffffc10, v9
	v_med3_i32 v10, v13, 0, 13
	v_cmp_ne_u32_e32 vcc, 0, v1
	v_or_b32_e32 v14, 0x1000, v7
	v_lshrrev_b32_e32 v16, v3, v12
	v_add_u32_e32 v11, 0xfffffc10, v11
	v_lshl_or_b32 v13, v9, 12, v1
	v_cndmask_b32_e64 v1, 0, 1, vcc
	v_cmp_ne_u32_e32 vcc, 0, v7
	v_lshrrev_b32_e32 v17, v10, v14
	v_lshlrev_b32_e32 v3, v3, v16
	v_lshl_or_b32 v15, v11, 12, v7
	v_cndmask_b32_e64 v7, 0, 1, vcc
	v_lshlrev_b32_e32 v10, v10, v17
	v_cmp_ne_u32_e32 vcc, v3, v12
	v_cndmask_b32_e64 v3, 0, 1, vcc
	v_cmp_ne_u32_e32 vcc, v10, v14
	v_cndmask_b32_e64 v10, 0, 1, vcc
	v_or_b32_e32 v3, v16, v3
	v_cmp_gt_i32_e32 vcc, 1, v9
	v_cndmask_b32_e32 v3, v13, v3, vcc
	v_or_b32_e32 v10, v17, v10
	v_cmp_gt_i32_e32 vcc, 1, v11
	v_and_b32_e32 v12, 7, v3
	v_cndmask_b32_e32 v10, v15, v10, vcc
	v_cmp_lt_i32_e32 vcc, 5, v12
	v_cmp_eq_u32_e64 s[0:1], 3, v12
	v_lshrrev_b32_e32 v3, 2, v3
	v_and_b32_e32 v13, 7, v10
	s_or_b64 vcc, s[0:1], vcc
	v_cmp_lt_i32_e64 s[2:3], 5, v13
	v_cmp_eq_u32_e64 s[4:5], 3, v13
	v_addc_co_u32_e32 v3, vcc, 0, v3, vcc
	v_lshrrev_b32_e32 v10, 2, v10
	s_or_b64 vcc, s[4:5], s[2:3]
	v_addc_co_u32_e32 v10, vcc, 0, v10, vcc
	v_cmp_gt_i32_e32 vcc, 31, v9
	v_cndmask_b32_e32 v3, v0, v3, vcc
	v_cmp_gt_i32_e32 vcc, 31, v11
	v_lshl_or_b32 v1, v1, 9, v0
	v_cndmask_b32_e32 v10, v0, v10, vcc
	v_cmp_eq_u32_e32 vcc, s18, v9
	v_lshrrev_b32_e32 v2, 16, v2
	v_lshl_or_b32 v7, v7, 9, v0
	v_cndmask_b32_e32 v1, v3, v1, vcc
	v_cmp_eq_u32_e32 vcc, s18, v11
	v_lshrrev_b32_e32 v8, 16, v8
	v_cndmask_b32_e32 v3, v10, v7, vcc
	v_and_or_b32 v1, v2, s17, v1
	v_and_or_b32 v2, v8, s17, v3
	v_and_b32_e32 v1, 0xffff, v1
	v_lshl_or_b32 v1, v2, 16, v1
	global_store_dword v[5:6], v1, off
	global_load_dword v3, v245, s[6:7] offset:2420
	v_add_u32_e32 v1, 0x800, v4
	ds_read2_b32 v[1:2], v1 offset0:93 offset1:148
	v_add_co_u32_e32 v5, vcc, s8, v5
	s_waitcnt lgkmcnt(0)
	v_lshrrev_b32_e32 v7, 16, v1
	s_waitcnt vmcnt(0)
	v_mul_f16_sdwa v8, v7, v3 dst_sel:DWORD dst_unused:UNUSED_PAD src0_sel:DWORD src1_sel:WORD_1
	v_fma_f16 v8, v1, v3, v8
	v_mul_f16_sdwa v1, v1, v3 dst_sel:DWORD dst_unused:UNUSED_PAD src0_sel:DWORD src1_sel:WORD_1
	v_cvt_f32_f16_e32 v8, v8
	v_fma_f16 v1, v3, v7, -v1
	v_cvt_f32_f16_e32 v1, v1
	v_cvt_f64_f32_e32 v[7:8], v8
	v_cvt_f64_f32_e32 v[9:10], v1
	v_mov_b32_e32 v1, s9
	v_mul_f64 v[7:8], v[7:8], s[14:15]
	v_addc_co_u32_e32 v6, vcc, v6, v1, vcc
	v_mul_f64 v[9:10], v[9:10], s[14:15]
	v_and_or_b32 v1, v8, s16, v7
	v_cmp_ne_u32_e32 vcc, 0, v1
	v_lshrrev_b32_e32 v3, 8, v8
	v_and_or_b32 v9, v10, s16, v9
	v_bfe_u32 v7, v8, 20, 11
	v_cndmask_b32_e64 v1, 0, 1, vcc
	v_cmp_ne_u32_e32 vcc, 0, v9
	v_lshrrev_b32_e32 v11, 8, v10
	v_bfe_u32 v12, v10, 20, 11
	v_sub_u32_e32 v13, 0x3f1, v7
	v_cndmask_b32_e64 v9, 0, 1, vcc
	v_and_or_b32 v1, v3, s10, v1
	v_sub_u32_e32 v14, 0x3f1, v12
	v_med3_i32 v3, v13, 0, 13
	v_and_or_b32 v9, v11, s10, v9
	v_or_b32_e32 v13, 0x1000, v1
	v_add_u32_e32 v7, 0xfffffc10, v7
	v_med3_i32 v11, v14, 0, 13
	v_cmp_ne_u32_e32 vcc, 0, v1
	v_or_b32_e32 v15, 0x1000, v9
	v_lshrrev_b32_e32 v17, v3, v13
	v_add_u32_e32 v12, 0xfffffc10, v12
	v_lshl_or_b32 v14, v7, 12, v1
	v_cndmask_b32_e64 v1, 0, 1, vcc
	v_cmp_ne_u32_e32 vcc, 0, v9
	v_lshrrev_b32_e32 v18, v11, v15
	v_lshlrev_b32_e32 v3, v3, v17
	v_lshl_or_b32 v16, v12, 12, v9
	v_cndmask_b32_e64 v9, 0, 1, vcc
	v_lshlrev_b32_e32 v11, v11, v18
	v_cmp_ne_u32_e32 vcc, v3, v13
	v_cndmask_b32_e64 v3, 0, 1, vcc
	v_cmp_ne_u32_e32 vcc, v11, v15
	v_cndmask_b32_e64 v11, 0, 1, vcc
	v_or_b32_e32 v3, v17, v3
	v_cmp_gt_i32_e32 vcc, 1, v7
	v_cndmask_b32_e32 v3, v14, v3, vcc
	v_or_b32_e32 v11, v18, v11
	v_cmp_gt_i32_e32 vcc, 1, v12
	v_and_b32_e32 v13, 7, v3
	v_cndmask_b32_e32 v11, v16, v11, vcc
	v_cmp_lt_i32_e32 vcc, 5, v13
	v_cmp_eq_u32_e64 s[0:1], 3, v13
	v_lshrrev_b32_e32 v3, 2, v3
	v_and_b32_e32 v14, 7, v11
	s_or_b64 vcc, s[0:1], vcc
	v_cmp_lt_i32_e64 s[2:3], 5, v14
	v_cmp_eq_u32_e64 s[4:5], 3, v14
	v_addc_co_u32_e32 v3, vcc, 0, v3, vcc
	v_lshrrev_b32_e32 v11, 2, v11
	s_or_b64 vcc, s[4:5], s[2:3]
	v_addc_co_u32_e32 v11, vcc, 0, v11, vcc
	v_cmp_gt_i32_e32 vcc, 31, v7
	v_cndmask_b32_e32 v3, v0, v3, vcc
	v_cmp_gt_i32_e32 vcc, 31, v12
	v_lshl_or_b32 v1, v1, 9, v0
	v_cndmask_b32_e32 v11, v0, v11, vcc
	v_cmp_eq_u32_e32 vcc, s18, v7
	v_lshrrev_b32_e32 v8, 16, v8
	v_lshl_or_b32 v9, v9, 9, v0
	v_cndmask_b32_e32 v1, v3, v1, vcc
	v_cmp_eq_u32_e32 vcc, s18, v12
	v_lshrrev_b32_e32 v10, 16, v10
	v_cndmask_b32_e32 v3, v11, v9, vcc
	v_and_or_b32 v1, v8, s17, v1
	v_and_or_b32 v3, v10, s17, v3
	v_and_b32_e32 v1, 0xffff, v1
	v_lshl_or_b32 v1, v3, 16, v1
	global_store_dword v[5:6], v1, off
	global_load_dword v1, v245, s[6:7] offset:2640
	v_lshrrev_b32_e32 v3, 16, v2
	v_add_co_u32_e32 v5, vcc, s8, v5
	s_waitcnt vmcnt(0)
	v_mul_f16_sdwa v7, v3, v1 dst_sel:DWORD dst_unused:UNUSED_PAD src0_sel:DWORD src1_sel:WORD_1
	v_fma_f16 v7, v2, v1, v7
	v_mul_f16_sdwa v2, v2, v1 dst_sel:DWORD dst_unused:UNUSED_PAD src0_sel:DWORD src1_sel:WORD_1
	v_cvt_f32_f16_e32 v7, v7
	v_fma_f16 v1, v1, v3, -v2
	v_cvt_f32_f16_e32 v3, v1
	v_cvt_f64_f32_e32 v[1:2], v7
	v_cvt_f64_f32_e32 v[7:8], v3
	v_mov_b32_e32 v3, s9
	v_mul_f64 v[1:2], v[1:2], s[14:15]
	v_addc_co_u32_e32 v6, vcc, v6, v3, vcc
	v_mul_f64 v[7:8], v[7:8], s[14:15]
	v_and_or_b32 v1, v2, s16, v1
	v_cmp_ne_u32_e32 vcc, 0, v1
	v_lshrrev_b32_e32 v3, 8, v2
	v_and_or_b32 v7, v8, s16, v7
	v_bfe_u32 v9, v2, 20, 11
	v_cndmask_b32_e64 v1, 0, 1, vcc
	v_cmp_ne_u32_e32 vcc, 0, v7
	v_lshrrev_b32_e32 v10, 8, v8
	v_bfe_u32 v11, v8, 20, 11
	v_sub_u32_e32 v12, 0x3f1, v9
	v_cndmask_b32_e64 v7, 0, 1, vcc
	v_and_or_b32 v1, v3, s10, v1
	v_sub_u32_e32 v13, 0x3f1, v11
	v_med3_i32 v3, v12, 0, 13
	v_and_or_b32 v7, v10, s10, v7
	v_or_b32_e32 v12, 0x1000, v1
	v_add_u32_e32 v9, 0xfffffc10, v9
	v_med3_i32 v10, v13, 0, 13
	v_cmp_ne_u32_e32 vcc, 0, v1
	v_or_b32_e32 v14, 0x1000, v7
	v_lshrrev_b32_e32 v16, v3, v12
	v_add_u32_e32 v11, 0xfffffc10, v11
	v_lshl_or_b32 v13, v9, 12, v1
	v_cndmask_b32_e64 v1, 0, 1, vcc
	v_cmp_ne_u32_e32 vcc, 0, v7
	v_lshrrev_b32_e32 v17, v10, v14
	v_lshlrev_b32_e32 v3, v3, v16
	v_lshl_or_b32 v15, v11, 12, v7
	v_cndmask_b32_e64 v7, 0, 1, vcc
	v_lshlrev_b32_e32 v10, v10, v17
	v_cmp_ne_u32_e32 vcc, v3, v12
	v_cndmask_b32_e64 v3, 0, 1, vcc
	v_cmp_ne_u32_e32 vcc, v10, v14
	v_cndmask_b32_e64 v10, 0, 1, vcc
	v_or_b32_e32 v3, v16, v3
	v_cmp_gt_i32_e32 vcc, 1, v9
	v_cndmask_b32_e32 v3, v13, v3, vcc
	v_or_b32_e32 v10, v17, v10
	v_cmp_gt_i32_e32 vcc, 1, v11
	v_and_b32_e32 v12, 7, v3
	v_cndmask_b32_e32 v10, v15, v10, vcc
	v_cmp_lt_i32_e32 vcc, 5, v12
	v_cmp_eq_u32_e64 s[0:1], 3, v12
	v_lshrrev_b32_e32 v3, 2, v3
	v_and_b32_e32 v13, 7, v10
	s_or_b64 vcc, s[0:1], vcc
	v_cmp_lt_i32_e64 s[2:3], 5, v13
	v_cmp_eq_u32_e64 s[4:5], 3, v13
	v_addc_co_u32_e32 v3, vcc, 0, v3, vcc
	v_lshrrev_b32_e32 v10, 2, v10
	s_or_b64 vcc, s[4:5], s[2:3]
	v_addc_co_u32_e32 v10, vcc, 0, v10, vcc
	v_cmp_gt_i32_e32 vcc, 31, v9
	v_cndmask_b32_e32 v3, v0, v3, vcc
	v_cmp_gt_i32_e32 vcc, 31, v11
	v_lshl_or_b32 v1, v1, 9, v0
	v_cndmask_b32_e32 v10, v0, v10, vcc
	v_cmp_eq_u32_e32 vcc, s18, v9
	v_lshrrev_b32_e32 v2, 16, v2
	v_lshl_or_b32 v7, v7, 9, v0
	v_cndmask_b32_e32 v1, v3, v1, vcc
	v_cmp_eq_u32_e32 vcc, s18, v11
	v_lshrrev_b32_e32 v8, 16, v8
	v_cndmask_b32_e32 v3, v10, v7, vcc
	v_and_or_b32 v1, v2, s17, v1
	v_and_or_b32 v2, v8, s17, v3
	v_and_b32_e32 v1, 0xffff, v1
	v_lshl_or_b32 v1, v2, 16, v1
	global_store_dword v[5:6], v1, off
	global_load_dword v3, v245, s[6:7] offset:2860
	v_add_u32_e32 v1, 0xa00, v4
	ds_read2_b32 v[1:2], v1 offset0:75 offset1:130
	v_add_co_u32_e32 v5, vcc, s8, v5
	s_waitcnt lgkmcnt(0)
	v_lshrrev_b32_e32 v7, 16, v1
	s_waitcnt vmcnt(0)
	v_mul_f16_sdwa v8, v7, v3 dst_sel:DWORD dst_unused:UNUSED_PAD src0_sel:DWORD src1_sel:WORD_1
	v_fma_f16 v8, v1, v3, v8
	v_mul_f16_sdwa v1, v1, v3 dst_sel:DWORD dst_unused:UNUSED_PAD src0_sel:DWORD src1_sel:WORD_1
	v_cvt_f32_f16_e32 v8, v8
	v_fma_f16 v1, v3, v7, -v1
	v_cvt_f32_f16_e32 v1, v1
	v_cvt_f64_f32_e32 v[7:8], v8
	v_cvt_f64_f32_e32 v[9:10], v1
	v_mov_b32_e32 v1, s9
	v_mul_f64 v[7:8], v[7:8], s[14:15]
	v_addc_co_u32_e32 v6, vcc, v6, v1, vcc
	v_mul_f64 v[9:10], v[9:10], s[14:15]
	v_and_or_b32 v1, v8, s16, v7
	v_cmp_ne_u32_e32 vcc, 0, v1
	v_lshrrev_b32_e32 v3, 8, v8
	v_and_or_b32 v9, v10, s16, v9
	v_bfe_u32 v7, v8, 20, 11
	v_cndmask_b32_e64 v1, 0, 1, vcc
	v_cmp_ne_u32_e32 vcc, 0, v9
	v_lshrrev_b32_e32 v11, 8, v10
	v_bfe_u32 v12, v10, 20, 11
	v_sub_u32_e32 v13, 0x3f1, v7
	v_cndmask_b32_e64 v9, 0, 1, vcc
	v_and_or_b32 v1, v3, s10, v1
	v_sub_u32_e32 v14, 0x3f1, v12
	v_med3_i32 v3, v13, 0, 13
	v_and_or_b32 v9, v11, s10, v9
	v_or_b32_e32 v13, 0x1000, v1
	v_add_u32_e32 v7, 0xfffffc10, v7
	v_med3_i32 v11, v14, 0, 13
	v_cmp_ne_u32_e32 vcc, 0, v1
	v_or_b32_e32 v15, 0x1000, v9
	v_lshrrev_b32_e32 v17, v3, v13
	v_add_u32_e32 v12, 0xfffffc10, v12
	v_lshl_or_b32 v14, v7, 12, v1
	v_cndmask_b32_e64 v1, 0, 1, vcc
	v_cmp_ne_u32_e32 vcc, 0, v9
	v_lshrrev_b32_e32 v18, v11, v15
	v_lshlrev_b32_e32 v3, v3, v17
	v_lshl_or_b32 v16, v12, 12, v9
	v_cndmask_b32_e64 v9, 0, 1, vcc
	v_lshlrev_b32_e32 v11, v11, v18
	v_cmp_ne_u32_e32 vcc, v3, v13
	v_cndmask_b32_e64 v3, 0, 1, vcc
	v_cmp_ne_u32_e32 vcc, v11, v15
	v_cndmask_b32_e64 v11, 0, 1, vcc
	v_or_b32_e32 v3, v17, v3
	v_cmp_gt_i32_e32 vcc, 1, v7
	v_cndmask_b32_e32 v3, v14, v3, vcc
	v_or_b32_e32 v11, v18, v11
	v_cmp_gt_i32_e32 vcc, 1, v12
	v_and_b32_e32 v13, 7, v3
	v_cndmask_b32_e32 v11, v16, v11, vcc
	v_cmp_lt_i32_e32 vcc, 5, v13
	v_cmp_eq_u32_e64 s[0:1], 3, v13
	v_lshrrev_b32_e32 v3, 2, v3
	v_and_b32_e32 v14, 7, v11
	s_or_b64 vcc, s[0:1], vcc
	v_cmp_lt_i32_e64 s[2:3], 5, v14
	v_cmp_eq_u32_e64 s[4:5], 3, v14
	v_addc_co_u32_e32 v3, vcc, 0, v3, vcc
	v_lshrrev_b32_e32 v11, 2, v11
	s_or_b64 vcc, s[4:5], s[2:3]
	v_addc_co_u32_e32 v11, vcc, 0, v11, vcc
	v_cmp_gt_i32_e32 vcc, 31, v7
	v_cndmask_b32_e32 v3, v0, v3, vcc
	v_cmp_gt_i32_e32 vcc, 31, v12
	v_lshl_or_b32 v1, v1, 9, v0
	v_cndmask_b32_e32 v11, v0, v11, vcc
	v_cmp_eq_u32_e32 vcc, s18, v7
	v_lshrrev_b32_e32 v8, 16, v8
	v_lshl_or_b32 v9, v9, 9, v0
	v_cndmask_b32_e32 v1, v3, v1, vcc
	v_cmp_eq_u32_e32 vcc, s18, v12
	v_lshrrev_b32_e32 v10, 16, v10
	v_cndmask_b32_e32 v3, v11, v9, vcc
	v_and_or_b32 v1, v8, s17, v1
	v_and_or_b32 v3, v10, s17, v3
	v_and_b32_e32 v1, 0xffff, v1
	v_lshl_or_b32 v1, v3, 16, v1
	global_store_dword v[5:6], v1, off
	global_load_dword v1, v245, s[6:7] offset:3080
	v_lshrrev_b32_e32 v3, 16, v2
	v_add_co_u32_e32 v5, vcc, s8, v5
	s_waitcnt vmcnt(0)
	v_mul_f16_sdwa v7, v3, v1 dst_sel:DWORD dst_unused:UNUSED_PAD src0_sel:DWORD src1_sel:WORD_1
	v_fma_f16 v7, v2, v1, v7
	v_mul_f16_sdwa v2, v2, v1 dst_sel:DWORD dst_unused:UNUSED_PAD src0_sel:DWORD src1_sel:WORD_1
	v_cvt_f32_f16_e32 v7, v7
	v_fma_f16 v1, v1, v3, -v2
	v_cvt_f32_f16_e32 v3, v1
	v_cvt_f64_f32_e32 v[1:2], v7
	v_cvt_f64_f32_e32 v[7:8], v3
	v_mov_b32_e32 v3, s9
	v_mul_f64 v[1:2], v[1:2], s[14:15]
	v_addc_co_u32_e32 v6, vcc, v6, v3, vcc
	v_mul_f64 v[7:8], v[7:8], s[14:15]
	v_and_or_b32 v1, v2, s16, v1
	v_cmp_ne_u32_e32 vcc, 0, v1
	v_lshrrev_b32_e32 v3, 8, v2
	v_and_or_b32 v7, v8, s16, v7
	v_bfe_u32 v9, v2, 20, 11
	v_cndmask_b32_e64 v1, 0, 1, vcc
	v_cmp_ne_u32_e32 vcc, 0, v7
	v_lshrrev_b32_e32 v10, 8, v8
	v_bfe_u32 v11, v8, 20, 11
	v_sub_u32_e32 v12, 0x3f1, v9
	v_cndmask_b32_e64 v7, 0, 1, vcc
	v_and_or_b32 v1, v3, s10, v1
	v_sub_u32_e32 v13, 0x3f1, v11
	v_med3_i32 v3, v12, 0, 13
	v_and_or_b32 v7, v10, s10, v7
	v_or_b32_e32 v12, 0x1000, v1
	v_add_u32_e32 v9, 0xfffffc10, v9
	v_med3_i32 v10, v13, 0, 13
	v_cmp_ne_u32_e32 vcc, 0, v1
	v_or_b32_e32 v14, 0x1000, v7
	v_lshrrev_b32_e32 v16, v3, v12
	v_add_u32_e32 v11, 0xfffffc10, v11
	v_lshl_or_b32 v13, v9, 12, v1
	v_cndmask_b32_e64 v1, 0, 1, vcc
	v_cmp_ne_u32_e32 vcc, 0, v7
	v_lshrrev_b32_e32 v17, v10, v14
	v_lshlrev_b32_e32 v3, v3, v16
	v_lshl_or_b32 v15, v11, 12, v7
	v_cndmask_b32_e64 v7, 0, 1, vcc
	v_lshlrev_b32_e32 v10, v10, v17
	v_cmp_ne_u32_e32 vcc, v3, v12
	v_cndmask_b32_e64 v3, 0, 1, vcc
	v_cmp_ne_u32_e32 vcc, v10, v14
	v_cndmask_b32_e64 v10, 0, 1, vcc
	v_or_b32_e32 v3, v16, v3
	v_cmp_gt_i32_e32 vcc, 1, v9
	v_cndmask_b32_e32 v3, v13, v3, vcc
	v_or_b32_e32 v10, v17, v10
	v_cmp_gt_i32_e32 vcc, 1, v11
	v_and_b32_e32 v12, 7, v3
	v_cndmask_b32_e32 v10, v15, v10, vcc
	v_cmp_lt_i32_e32 vcc, 5, v12
	v_cmp_eq_u32_e64 s[0:1], 3, v12
	v_lshrrev_b32_e32 v3, 2, v3
	v_and_b32_e32 v13, 7, v10
	s_or_b64 vcc, s[0:1], vcc
	v_cmp_lt_i32_e64 s[2:3], 5, v13
	v_cmp_eq_u32_e64 s[4:5], 3, v13
	v_addc_co_u32_e32 v3, vcc, 0, v3, vcc
	v_lshrrev_b32_e32 v10, 2, v10
	s_or_b64 vcc, s[4:5], s[2:3]
	v_addc_co_u32_e32 v10, vcc, 0, v10, vcc
	v_cmp_gt_i32_e32 vcc, 31, v9
	v_cndmask_b32_e32 v3, v0, v3, vcc
	v_cmp_gt_i32_e32 vcc, 31, v11
	v_lshl_or_b32 v1, v1, 9, v0
	v_cndmask_b32_e32 v10, v0, v10, vcc
	v_cmp_eq_u32_e32 vcc, s18, v9
	v_lshrrev_b32_e32 v2, 16, v2
	v_lshl_or_b32 v7, v7, 9, v0
	v_cndmask_b32_e32 v1, v3, v1, vcc
	v_cmp_eq_u32_e32 vcc, s18, v11
	v_lshrrev_b32_e32 v8, 16, v8
	v_cndmask_b32_e32 v3, v10, v7, vcc
	v_and_or_b32 v1, v2, s17, v1
	v_and_or_b32 v2, v8, s17, v3
	v_and_b32_e32 v1, 0xffff, v1
	v_lshl_or_b32 v1, v2, 16, v1
	global_store_dword v[5:6], v1, off
	global_load_dword v3, v245, s[6:7] offset:3300
	v_add_u32_e32 v1, 0xc00, v4
	ds_read2_b32 v[1:2], v1 offset0:57 offset1:112
	v_add_co_u32_e32 v5, vcc, s8, v5
	s_waitcnt lgkmcnt(0)
	v_lshrrev_b32_e32 v4, 16, v1
	s_waitcnt vmcnt(0)
	v_mul_f16_sdwa v7, v4, v3 dst_sel:DWORD dst_unused:UNUSED_PAD src0_sel:DWORD src1_sel:WORD_1
	v_fma_f16 v7, v1, v3, v7
	v_mul_f16_sdwa v1, v1, v3 dst_sel:DWORD dst_unused:UNUSED_PAD src0_sel:DWORD src1_sel:WORD_1
	v_cvt_f32_f16_e32 v7, v7
	v_fma_f16 v1, v3, v4, -v1
	v_cvt_f32_f16_e32 v1, v1
	v_cvt_f64_f32_e32 v[3:4], v7
	v_cvt_f64_f32_e32 v[7:8], v1
	v_mov_b32_e32 v1, s9
	v_mul_f64 v[3:4], v[3:4], s[14:15]
	v_addc_co_u32_e32 v6, vcc, v6, v1, vcc
	v_mul_f64 v[7:8], v[7:8], s[14:15]
	v_and_or_b32 v1, v4, s16, v3
	v_cmp_ne_u32_e32 vcc, 0, v1
	v_lshrrev_b32_e32 v3, 8, v4
	v_and_or_b32 v7, v8, s16, v7
	v_bfe_u32 v9, v4, 20, 11
	v_cndmask_b32_e64 v1, 0, 1, vcc
	v_cmp_ne_u32_e32 vcc, 0, v7
	v_lshrrev_b32_e32 v10, 8, v8
	v_bfe_u32 v11, v8, 20, 11
	v_sub_u32_e32 v12, 0x3f1, v9
	v_cndmask_b32_e64 v7, 0, 1, vcc
	v_and_or_b32 v1, v3, s10, v1
	v_sub_u32_e32 v13, 0x3f1, v11
	v_med3_i32 v3, v12, 0, 13
	v_and_or_b32 v7, v10, s10, v7
	v_or_b32_e32 v12, 0x1000, v1
	v_add_u32_e32 v9, 0xfffffc10, v9
	v_med3_i32 v10, v13, 0, 13
	v_cmp_ne_u32_e32 vcc, 0, v1
	v_or_b32_e32 v14, 0x1000, v7
	v_lshrrev_b32_e32 v16, v3, v12
	v_add_u32_e32 v11, 0xfffffc10, v11
	v_lshl_or_b32 v13, v9, 12, v1
	v_cndmask_b32_e64 v1, 0, 1, vcc
	v_cmp_ne_u32_e32 vcc, 0, v7
	v_lshrrev_b32_e32 v17, v10, v14
	v_lshlrev_b32_e32 v3, v3, v16
	v_lshl_or_b32 v15, v11, 12, v7
	v_cndmask_b32_e64 v7, 0, 1, vcc
	v_lshlrev_b32_e32 v10, v10, v17
	v_cmp_ne_u32_e32 vcc, v3, v12
	v_cndmask_b32_e64 v3, 0, 1, vcc
	v_cmp_ne_u32_e32 vcc, v10, v14
	v_cndmask_b32_e64 v10, 0, 1, vcc
	v_or_b32_e32 v3, v16, v3
	v_cmp_gt_i32_e32 vcc, 1, v9
	v_cndmask_b32_e32 v3, v13, v3, vcc
	v_or_b32_e32 v10, v17, v10
	v_cmp_gt_i32_e32 vcc, 1, v11
	v_and_b32_e32 v12, 7, v3
	v_cndmask_b32_e32 v10, v15, v10, vcc
	v_cmp_lt_i32_e32 vcc, 5, v12
	v_cmp_eq_u32_e64 s[0:1], 3, v12
	v_lshrrev_b32_e32 v3, 2, v3
	v_and_b32_e32 v13, 7, v10
	s_or_b64 vcc, s[0:1], vcc
	v_cmp_lt_i32_e64 s[2:3], 5, v13
	v_cmp_eq_u32_e64 s[4:5], 3, v13
	v_addc_co_u32_e32 v3, vcc, 0, v3, vcc
	v_lshrrev_b32_e32 v10, 2, v10
	s_or_b64 vcc, s[4:5], s[2:3]
	v_addc_co_u32_e32 v10, vcc, 0, v10, vcc
	v_cmp_gt_i32_e32 vcc, 31, v9
	v_cndmask_b32_e32 v3, v0, v3, vcc
	v_cmp_gt_i32_e32 vcc, 31, v11
	v_lshl_or_b32 v1, v1, 9, v0
	v_cndmask_b32_e32 v10, v0, v10, vcc
	v_cmp_eq_u32_e32 vcc, s18, v9
	v_lshrrev_b32_e32 v4, 16, v4
	v_lshl_or_b32 v7, v7, 9, v0
	v_cndmask_b32_e32 v1, v3, v1, vcc
	v_cmp_eq_u32_e32 vcc, s18, v11
	v_lshrrev_b32_e32 v8, 16, v8
	v_cndmask_b32_e32 v3, v10, v7, vcc
	v_and_or_b32 v1, v4, s17, v1
	v_and_or_b32 v3, v8, s17, v3
	v_and_b32_e32 v1, 0xffff, v1
	v_lshl_or_b32 v1, v3, 16, v1
	global_store_dword v[5:6], v1, off
	global_load_dword v1, v245, s[6:7] offset:3520
	v_lshrrev_b32_e32 v3, 16, v2
	v_mov_b32_e32 v7, s9
	s_waitcnt vmcnt(0)
	v_mul_f16_sdwa v4, v3, v1 dst_sel:DWORD dst_unused:UNUSED_PAD src0_sel:DWORD src1_sel:WORD_1
	v_fma_f16 v4, v2, v1, v4
	v_mul_f16_sdwa v2, v2, v1 dst_sel:DWORD dst_unused:UNUSED_PAD src0_sel:DWORD src1_sel:WORD_1
	v_cvt_f32_f16_e32 v4, v4
	v_fma_f16 v1, v1, v3, -v2
	v_cvt_f32_f16_e32 v3, v1
	v_cvt_f64_f32_e32 v[1:2], v4
	v_cvt_f64_f32_e32 v[3:4], v3
	v_mul_f64 v[1:2], v[1:2], s[14:15]
	v_mul_f64 v[3:4], v[3:4], s[14:15]
	v_and_or_b32 v1, v2, s16, v1
	v_cmp_ne_u32_e32 vcc, 0, v1
	v_and_or_b32 v3, v4, s16, v3
	v_lshrrev_b32_e32 v8, 8, v2
	v_bfe_u32 v9, v2, 20, 11
	v_cndmask_b32_e64 v1, 0, 1, vcc
	v_cmp_ne_u32_e32 vcc, 0, v3
	v_lshrrev_b32_e32 v10, 8, v4
	v_bfe_u32 v11, v4, 20, 11
	v_sub_u32_e32 v12, 0x3f1, v9
	v_cndmask_b32_e64 v3, 0, 1, vcc
	v_and_or_b32 v1, v8, s10, v1
	v_sub_u32_e32 v13, 0x3f1, v11
	v_med3_i32 v8, v12, 0, 13
	v_and_or_b32 v3, v10, s10, v3
	v_or_b32_e32 v12, 0x1000, v1
	v_add_u32_e32 v9, 0xfffffc10, v9
	v_med3_i32 v10, v13, 0, 13
	v_cmp_ne_u32_e32 vcc, 0, v1
	v_or_b32_e32 v14, 0x1000, v3
	v_lshrrev_b32_e32 v16, v8, v12
	v_add_u32_e32 v11, 0xfffffc10, v11
	v_lshl_or_b32 v13, v9, 12, v1
	v_cndmask_b32_e64 v1, 0, 1, vcc
	v_cmp_ne_u32_e32 vcc, 0, v3
	v_lshrrev_b32_e32 v17, v10, v14
	v_lshlrev_b32_e32 v8, v8, v16
	v_lshl_or_b32 v15, v11, 12, v3
	v_cndmask_b32_e64 v3, 0, 1, vcc
	v_lshlrev_b32_e32 v10, v10, v17
	v_cmp_ne_u32_e32 vcc, v8, v12
	v_cndmask_b32_e64 v8, 0, 1, vcc
	v_cmp_ne_u32_e32 vcc, v10, v14
	v_cndmask_b32_e64 v10, 0, 1, vcc
	v_or_b32_e32 v8, v16, v8
	v_cmp_gt_i32_e32 vcc, 1, v9
	v_cndmask_b32_e32 v8, v13, v8, vcc
	v_or_b32_e32 v10, v17, v10
	v_cmp_gt_i32_e32 vcc, 1, v11
	v_and_b32_e32 v12, 7, v8
	v_cndmask_b32_e32 v10, v15, v10, vcc
	v_cmp_lt_i32_e32 vcc, 5, v12
	v_cmp_eq_u32_e64 s[0:1], 3, v12
	v_lshrrev_b32_e32 v8, 2, v8
	v_and_b32_e32 v13, 7, v10
	s_or_b64 vcc, s[0:1], vcc
	v_cmp_lt_i32_e64 s[2:3], 5, v13
	v_cmp_eq_u32_e64 s[4:5], 3, v13
	v_addc_co_u32_e32 v8, vcc, 0, v8, vcc
	v_lshrrev_b32_e32 v10, 2, v10
	s_or_b64 vcc, s[4:5], s[2:3]
	v_addc_co_u32_e32 v10, vcc, 0, v10, vcc
	v_cmp_gt_i32_e32 vcc, 31, v9
	v_cndmask_b32_e32 v8, v0, v8, vcc
	v_cmp_gt_i32_e32 vcc, 31, v11
	v_lshl_or_b32 v1, v1, 9, v0
	v_lshl_or_b32 v3, v3, 9, v0
	v_cndmask_b32_e32 v0, v0, v10, vcc
	v_cmp_eq_u32_e32 vcc, s18, v9
	v_lshrrev_b32_e32 v2, 16, v2
	v_cndmask_b32_e32 v1, v8, v1, vcc
	v_cmp_eq_u32_e32 vcc, s18, v11
	v_lshrrev_b32_e32 v4, 16, v4
	v_cndmask_b32_e32 v0, v0, v3, vcc
	v_and_or_b32 v1, v2, s17, v1
	v_and_or_b32 v0, v4, s17, v0
	v_and_b32_e32 v1, 0xffff, v1
	v_lshl_or_b32 v2, v0, 16, v1
	v_add_co_u32_e32 v0, vcc, s8, v5
	v_addc_co_u32_e32 v1, vcc, v6, v7, vcc
	global_store_dword v[0:1], v2, off
.LBB0_23:
	s_endpgm
	.section	.rodata,"a",@progbits
	.p2align	6, 0x0
	.amdhsa_kernel bluestein_single_back_len935_dim1_half_op_CI_CI
		.amdhsa_group_segment_fixed_size 11220
		.amdhsa_private_segment_fixed_size 28
		.amdhsa_kernarg_size 104
		.amdhsa_user_sgpr_count 6
		.amdhsa_user_sgpr_private_segment_buffer 1
		.amdhsa_user_sgpr_dispatch_ptr 0
		.amdhsa_user_sgpr_queue_ptr 0
		.amdhsa_user_sgpr_kernarg_segment_ptr 1
		.amdhsa_user_sgpr_dispatch_id 0
		.amdhsa_user_sgpr_flat_scratch_init 0
		.amdhsa_user_sgpr_private_segment_size 0
		.amdhsa_uses_dynamic_stack 0
		.amdhsa_system_sgpr_private_segment_wavefront_offset 1
		.amdhsa_system_sgpr_workgroup_id_x 1
		.amdhsa_system_sgpr_workgroup_id_y 0
		.amdhsa_system_sgpr_workgroup_id_z 0
		.amdhsa_system_sgpr_workgroup_info 0
		.amdhsa_system_vgpr_workitem_id 0
		.amdhsa_next_free_vgpr 256
		.amdhsa_next_free_sgpr 44
		.amdhsa_reserve_vcc 1
		.amdhsa_reserve_flat_scratch 0
		.amdhsa_float_round_mode_32 0
		.amdhsa_float_round_mode_16_64 0
		.amdhsa_float_denorm_mode_32 3
		.amdhsa_float_denorm_mode_16_64 3
		.amdhsa_dx10_clamp 1
		.amdhsa_ieee_mode 1
		.amdhsa_fp16_overflow 0
		.amdhsa_exception_fp_ieee_invalid_op 0
		.amdhsa_exception_fp_denorm_src 0
		.amdhsa_exception_fp_ieee_div_zero 0
		.amdhsa_exception_fp_ieee_overflow 0
		.amdhsa_exception_fp_ieee_underflow 0
		.amdhsa_exception_fp_ieee_inexact 0
		.amdhsa_exception_int_div_zero 0
	.end_amdhsa_kernel
	.text
.Lfunc_end0:
	.size	bluestein_single_back_len935_dim1_half_op_CI_CI, .Lfunc_end0-bluestein_single_back_len935_dim1_half_op_CI_CI
                                        ; -- End function
	.section	.AMDGPU.csdata,"",@progbits
; Kernel info:
; codeLenInByte = 31064
; NumSgprs: 48
; NumVgprs: 256
; ScratchSize: 28
; MemoryBound: 0
; FloatMode: 240
; IeeeMode: 1
; LDSByteSize: 11220 bytes/workgroup (compile time only)
; SGPRBlocks: 5
; VGPRBlocks: 63
; NumSGPRsForWavesPerEU: 48
; NumVGPRsForWavesPerEU: 256
; Occupancy: 1
; WaveLimiterHint : 1
; COMPUTE_PGM_RSRC2:SCRATCH_EN: 1
; COMPUTE_PGM_RSRC2:USER_SGPR: 6
; COMPUTE_PGM_RSRC2:TRAP_HANDLER: 0
; COMPUTE_PGM_RSRC2:TGID_X_EN: 1
; COMPUTE_PGM_RSRC2:TGID_Y_EN: 0
; COMPUTE_PGM_RSRC2:TGID_Z_EN: 0
; COMPUTE_PGM_RSRC2:TIDIG_COMP_CNT: 0
	.type	__hip_cuid_f0a8d5b32bffea39,@object ; @__hip_cuid_f0a8d5b32bffea39
	.section	.bss,"aw",@nobits
	.globl	__hip_cuid_f0a8d5b32bffea39
__hip_cuid_f0a8d5b32bffea39:
	.byte	0                               ; 0x0
	.size	__hip_cuid_f0a8d5b32bffea39, 1

	.ident	"AMD clang version 19.0.0git (https://github.com/RadeonOpenCompute/llvm-project roc-6.4.0 25133 c7fe45cf4b819c5991fe208aaa96edf142730f1d)"
	.section	".note.GNU-stack","",@progbits
	.addrsig
	.addrsig_sym __hip_cuid_f0a8d5b32bffea39
	.amdgpu_metadata
---
amdhsa.kernels:
  - .args:
      - .actual_access:  read_only
        .address_space:  global
        .offset:         0
        .size:           8
        .value_kind:     global_buffer
      - .actual_access:  read_only
        .address_space:  global
        .offset:         8
        .size:           8
        .value_kind:     global_buffer
      - .actual_access:  read_only
        .address_space:  global
        .offset:         16
        .size:           8
        .value_kind:     global_buffer
      - .actual_access:  read_only
        .address_space:  global
        .offset:         24
        .size:           8
        .value_kind:     global_buffer
      - .actual_access:  read_only
        .address_space:  global
        .offset:         32
        .size:           8
        .value_kind:     global_buffer
      - .offset:         40
        .size:           8
        .value_kind:     by_value
      - .address_space:  global
        .offset:         48
        .size:           8
        .value_kind:     global_buffer
      - .address_space:  global
        .offset:         56
        .size:           8
        .value_kind:     global_buffer
      - .address_space:  global
        .offset:         64
        .size:           8
        .value_kind:     global_buffer
      - .address_space:  global
        .offset:         72
        .size:           8
        .value_kind:     global_buffer
      - .offset:         80
        .size:           4
        .value_kind:     by_value
      - .address_space:  global
        .offset:         88
        .size:           8
        .value_kind:     global_buffer
      - .address_space:  global
        .offset:         96
        .size:           8
        .value_kind:     global_buffer
    .group_segment_fixed_size: 11220
    .kernarg_segment_align: 8
    .kernarg_segment_size: 104
    .language:       OpenCL C
    .language_version:
      - 2
      - 0
    .max_flat_workgroup_size: 255
    .name:           bluestein_single_back_len935_dim1_half_op_CI_CI
    .private_segment_fixed_size: 28
    .sgpr_count:     48
    .sgpr_spill_count: 0
    .symbol:         bluestein_single_back_len935_dim1_half_op_CI_CI.kd
    .uniform_work_group_size: 1
    .uses_dynamic_stack: false
    .vgpr_count:     256
    .vgpr_spill_count: 6
    .wavefront_size: 64
amdhsa.target:   amdgcn-amd-amdhsa--gfx906
amdhsa.version:
  - 1
  - 2
...

	.end_amdgpu_metadata
